;; amdgpu-corpus repo=ROCm/rocFFT kind=compiled arch=gfx1030 opt=O3
	.text
	.amdgcn_target "amdgcn-amd-amdhsa--gfx1030"
	.amdhsa_code_object_version 6
	.protected	fft_rtc_back_len1248_factors_2_2_13_2_3_2_2_wgs_52_tpt_52_halfLds_half_op_CI_CI_unitstride_sbrr_R2C_dirReg ; -- Begin function fft_rtc_back_len1248_factors_2_2_13_2_3_2_2_wgs_52_tpt_52_halfLds_half_op_CI_CI_unitstride_sbrr_R2C_dirReg
	.globl	fft_rtc_back_len1248_factors_2_2_13_2_3_2_2_wgs_52_tpt_52_halfLds_half_op_CI_CI_unitstride_sbrr_R2C_dirReg
	.p2align	8
	.type	fft_rtc_back_len1248_factors_2_2_13_2_3_2_2_wgs_52_tpt_52_halfLds_half_op_CI_CI_unitstride_sbrr_R2C_dirReg,@function
fft_rtc_back_len1248_factors_2_2_13_2_3_2_2_wgs_52_tpt_52_halfLds_half_op_CI_CI_unitstride_sbrr_R2C_dirReg: ; @fft_rtc_back_len1248_factors_2_2_13_2_3_2_2_wgs_52_tpt_52_halfLds_half_op_CI_CI_unitstride_sbrr_R2C_dirReg
; %bb.0:
	s_clause 0x2
	s_load_dwordx4 s[12:15], s[4:5], 0x0
	s_load_dwordx4 s[8:11], s[4:5], 0x58
	;; [unrolled: 1-line block ×3, first 2 shown]
	v_mul_u32_u24_e32 v1, 0x4ed, v0
	v_mov_b32_e32 v3, 0
	v_add_nc_u32_sdwa v5, s6, v1 dst_sel:DWORD dst_unused:UNUSED_PAD src0_sel:DWORD src1_sel:WORD_1
	v_mov_b32_e32 v1, 0
	v_mov_b32_e32 v6, v3
	v_mov_b32_e32 v2, 0
	s_waitcnt lgkmcnt(0)
	v_cmp_lt_u64_e64 s0, s[14:15], 2
	s_and_b32 vcc_lo, exec_lo, s0
	s_cbranch_vccnz .LBB0_8
; %bb.1:
	s_load_dwordx2 s[0:1], s[4:5], 0x10
	v_mov_b32_e32 v1, 0
	v_mov_b32_e32 v2, 0
	s_add_u32 s2, s18, 8
	s_addc_u32 s3, s19, 0
	s_add_u32 s6, s16, 8
	s_addc_u32 s7, s17, 0
	v_mov_b32_e32 v13, v2
	v_mov_b32_e32 v12, v1
	s_mov_b64 s[22:23], 1
	s_waitcnt lgkmcnt(0)
	s_add_u32 s20, s0, 8
	s_addc_u32 s21, s1, 0
.LBB0_2:                                ; =>This Inner Loop Header: Depth=1
	s_load_dwordx2 s[24:25], s[20:21], 0x0
                                        ; implicit-def: $vgpr16_vgpr17
	s_mov_b32 s0, exec_lo
	s_waitcnt lgkmcnt(0)
	v_or_b32_e32 v4, s25, v6
	v_cmpx_ne_u64_e32 0, v[3:4]
	s_xor_b32 s1, exec_lo, s0
	s_cbranch_execz .LBB0_4
; %bb.3:                                ;   in Loop: Header=BB0_2 Depth=1
	v_cvt_f32_u32_e32 v4, s24
	v_cvt_f32_u32_e32 v7, s25
	s_sub_u32 s0, 0, s24
	s_subb_u32 s26, 0, s25
	v_fmac_f32_e32 v4, 0x4f800000, v7
	v_rcp_f32_e32 v4, v4
	v_mul_f32_e32 v4, 0x5f7ffffc, v4
	v_mul_f32_e32 v7, 0x2f800000, v4
	v_trunc_f32_e32 v7, v7
	v_fmac_f32_e32 v4, 0xcf800000, v7
	v_cvt_u32_f32_e32 v7, v7
	v_cvt_u32_f32_e32 v4, v4
	v_mul_lo_u32 v8, s0, v7
	v_mul_hi_u32 v9, s0, v4
	v_mul_lo_u32 v10, s26, v4
	v_add_nc_u32_e32 v8, v9, v8
	v_mul_lo_u32 v9, s0, v4
	v_add_nc_u32_e32 v8, v8, v10
	v_mul_hi_u32 v10, v4, v9
	v_mul_lo_u32 v11, v4, v8
	v_mul_hi_u32 v14, v4, v8
	v_mul_hi_u32 v15, v7, v9
	v_mul_lo_u32 v9, v7, v9
	v_mul_hi_u32 v16, v7, v8
	v_mul_lo_u32 v8, v7, v8
	v_add_co_u32 v10, vcc_lo, v10, v11
	v_add_co_ci_u32_e32 v11, vcc_lo, 0, v14, vcc_lo
	v_add_co_u32 v9, vcc_lo, v10, v9
	v_add_co_ci_u32_e32 v9, vcc_lo, v11, v15, vcc_lo
	v_add_co_ci_u32_e32 v10, vcc_lo, 0, v16, vcc_lo
	v_add_co_u32 v8, vcc_lo, v9, v8
	v_add_co_ci_u32_e32 v9, vcc_lo, 0, v10, vcc_lo
	v_add_co_u32 v4, vcc_lo, v4, v8
	v_add_co_ci_u32_e32 v7, vcc_lo, v7, v9, vcc_lo
	v_mul_hi_u32 v8, s0, v4
	v_mul_lo_u32 v10, s26, v4
	v_mul_lo_u32 v9, s0, v7
	v_add_nc_u32_e32 v8, v8, v9
	v_mul_lo_u32 v9, s0, v4
	v_add_nc_u32_e32 v8, v8, v10
	v_mul_hi_u32 v10, v4, v9
	v_mul_lo_u32 v11, v4, v8
	v_mul_hi_u32 v14, v4, v8
	v_mul_hi_u32 v15, v7, v9
	v_mul_lo_u32 v9, v7, v9
	v_mul_hi_u32 v16, v7, v8
	v_mul_lo_u32 v8, v7, v8
	v_add_co_u32 v10, vcc_lo, v10, v11
	v_add_co_ci_u32_e32 v11, vcc_lo, 0, v14, vcc_lo
	v_add_co_u32 v9, vcc_lo, v10, v9
	v_add_co_ci_u32_e32 v9, vcc_lo, v11, v15, vcc_lo
	v_add_co_ci_u32_e32 v10, vcc_lo, 0, v16, vcc_lo
	v_add_co_u32 v8, vcc_lo, v9, v8
	v_add_co_ci_u32_e32 v9, vcc_lo, 0, v10, vcc_lo
	v_add_co_u32 v4, vcc_lo, v4, v8
	v_add_co_ci_u32_e32 v11, vcc_lo, v7, v9, vcc_lo
	v_mul_hi_u32 v16, v5, v4
	v_mad_u64_u32 v[9:10], null, v6, v4, 0
	v_mad_u64_u32 v[7:8], null, v5, v11, 0
	;; [unrolled: 1-line block ×3, first 2 shown]
	v_add_co_u32 v4, vcc_lo, v16, v7
	v_add_co_ci_u32_e32 v7, vcc_lo, 0, v8, vcc_lo
	v_add_co_u32 v4, vcc_lo, v4, v9
	v_add_co_ci_u32_e32 v4, vcc_lo, v7, v10, vcc_lo
	v_add_co_ci_u32_e32 v7, vcc_lo, 0, v15, vcc_lo
	v_add_co_u32 v4, vcc_lo, v4, v14
	v_add_co_ci_u32_e32 v9, vcc_lo, 0, v7, vcc_lo
	v_mul_lo_u32 v10, s25, v4
	v_mad_u64_u32 v[7:8], null, s24, v4, 0
	v_mul_lo_u32 v11, s24, v9
	v_sub_co_u32 v7, vcc_lo, v5, v7
	v_add3_u32 v8, v8, v11, v10
	v_sub_nc_u32_e32 v10, v6, v8
	v_subrev_co_ci_u32_e64 v10, s0, s25, v10, vcc_lo
	v_add_co_u32 v11, s0, v4, 2
	v_add_co_ci_u32_e64 v14, s0, 0, v9, s0
	v_sub_co_u32 v15, s0, v7, s24
	v_sub_co_ci_u32_e32 v8, vcc_lo, v6, v8, vcc_lo
	v_subrev_co_ci_u32_e64 v10, s0, 0, v10, s0
	v_cmp_le_u32_e32 vcc_lo, s24, v15
	v_cmp_eq_u32_e64 s0, s25, v8
	v_cndmask_b32_e64 v15, 0, -1, vcc_lo
	v_cmp_le_u32_e32 vcc_lo, s25, v10
	v_cndmask_b32_e64 v16, 0, -1, vcc_lo
	v_cmp_le_u32_e32 vcc_lo, s24, v7
	;; [unrolled: 2-line block ×3, first 2 shown]
	v_cndmask_b32_e64 v17, 0, -1, vcc_lo
	v_cmp_eq_u32_e32 vcc_lo, s25, v10
	v_cndmask_b32_e64 v7, v17, v7, s0
	v_cndmask_b32_e32 v10, v16, v15, vcc_lo
	v_add_co_u32 v15, vcc_lo, v4, 1
	v_add_co_ci_u32_e32 v16, vcc_lo, 0, v9, vcc_lo
	v_cmp_ne_u32_e32 vcc_lo, 0, v10
	v_cndmask_b32_e32 v8, v16, v14, vcc_lo
	v_cndmask_b32_e32 v10, v15, v11, vcc_lo
	v_cmp_ne_u32_e32 vcc_lo, 0, v7
	v_cndmask_b32_e32 v17, v9, v8, vcc_lo
	v_cndmask_b32_e32 v16, v4, v10, vcc_lo
.LBB0_4:                                ;   in Loop: Header=BB0_2 Depth=1
	s_andn2_saveexec_b32 s0, s1
	s_cbranch_execz .LBB0_6
; %bb.5:                                ;   in Loop: Header=BB0_2 Depth=1
	v_cvt_f32_u32_e32 v4, s24
	s_sub_i32 s1, 0, s24
	v_mov_b32_e32 v17, v3
	v_rcp_iflag_f32_e32 v4, v4
	v_mul_f32_e32 v4, 0x4f7ffffe, v4
	v_cvt_u32_f32_e32 v4, v4
	v_mul_lo_u32 v7, s1, v4
	v_mul_hi_u32 v7, v4, v7
	v_add_nc_u32_e32 v4, v4, v7
	v_mul_hi_u32 v4, v5, v4
	v_mul_lo_u32 v7, v4, s24
	v_add_nc_u32_e32 v8, 1, v4
	v_sub_nc_u32_e32 v7, v5, v7
	v_subrev_nc_u32_e32 v9, s24, v7
	v_cmp_le_u32_e32 vcc_lo, s24, v7
	v_cndmask_b32_e32 v7, v7, v9, vcc_lo
	v_cndmask_b32_e32 v4, v4, v8, vcc_lo
	v_cmp_le_u32_e32 vcc_lo, s24, v7
	v_add_nc_u32_e32 v8, 1, v4
	v_cndmask_b32_e32 v16, v4, v8, vcc_lo
.LBB0_6:                                ;   in Loop: Header=BB0_2 Depth=1
	s_or_b32 exec_lo, exec_lo, s0
	v_mul_lo_u32 v4, v17, s24
	v_mul_lo_u32 v9, v16, s25
	s_load_dwordx2 s[0:1], s[6:7], 0x0
	v_mad_u64_u32 v[7:8], null, v16, s24, 0
	s_load_dwordx2 s[24:25], s[2:3], 0x0
	s_add_u32 s22, s22, 1
	s_addc_u32 s23, s23, 0
	s_add_u32 s2, s2, 8
	s_addc_u32 s3, s3, 0
	s_add_u32 s6, s6, 8
	v_add3_u32 v4, v8, v9, v4
	v_sub_co_u32 v5, vcc_lo, v5, v7
	s_addc_u32 s7, s7, 0
	s_add_u32 s20, s20, 8
	v_sub_co_ci_u32_e32 v4, vcc_lo, v6, v4, vcc_lo
	s_addc_u32 s21, s21, 0
	s_waitcnt lgkmcnt(0)
	v_mul_lo_u32 v6, s0, v4
	v_mul_lo_u32 v7, s1, v5
	v_mad_u64_u32 v[1:2], null, s0, v5, v[1:2]
	v_mul_lo_u32 v4, s24, v4
	v_mul_lo_u32 v8, s25, v5
	v_mad_u64_u32 v[12:13], null, s24, v5, v[12:13]
	v_cmp_ge_u64_e64 s0, s[22:23], s[14:15]
	v_add3_u32 v2, v7, v2, v6
	v_add3_u32 v13, v8, v13, v4
	s_and_b32 vcc_lo, exec_lo, s0
	s_cbranch_vccnz .LBB0_9
; %bb.7:                                ;   in Loop: Header=BB0_2 Depth=1
	v_mov_b32_e32 v5, v16
	v_mov_b32_e32 v6, v17
	s_branch .LBB0_2
.LBB0_8:
	v_mov_b32_e32 v13, v2
	v_mov_b32_e32 v17, v6
	;; [unrolled: 1-line block ×4, first 2 shown]
.LBB0_9:
	s_load_dwordx2 s[0:1], s[4:5], 0x28
	v_mul_hi_u32 v3, 0x4ec4ec5, v0
	s_lshl_b64 s[4:5], s[14:15], 3
                                        ; implicit-def: $vgpr14
                                        ; implicit-def: $vgpr29
                                        ; implicit-def: $vgpr31
                                        ; implicit-def: $vgpr33
                                        ; implicit-def: $vgpr35
                                        ; implicit-def: $vgpr37
                                        ; implicit-def: $vgpr18
                                        ; implicit-def: $vgpr20
                                        ; implicit-def: $vgpr22
                                        ; implicit-def: $vgpr24
                                        ; implicit-def: $vgpr26
                                        ; implicit-def: $vgpr28
	s_add_u32 s2, s18, s4
	s_addc_u32 s3, s19, s5
	s_waitcnt lgkmcnt(0)
	v_cmp_gt_u64_e32 vcc_lo, s[0:1], v[16:17]
	v_cmp_le_u64_e64 s0, s[0:1], v[16:17]
	s_and_saveexec_b32 s1, s0
	s_xor_b32 s0, exec_lo, s1
	s_cbranch_execz .LBB0_11
; %bb.10:
	v_mul_u32_u24_e32 v1, 52, v3
                                        ; implicit-def: $vgpr3
	v_sub_nc_u32_e32 v14, v0, v1
                                        ; implicit-def: $vgpr0
                                        ; implicit-def: $vgpr1_vgpr2
	v_add_nc_u32_e32 v29, 52, v14
	v_add_nc_u32_e32 v31, 0x68, v14
	v_add_nc_u32_e32 v33, 0x9c, v14
	v_add_nc_u32_e32 v35, 0xd0, v14
	v_add_nc_u32_e32 v37, 0x104, v14
	v_add_nc_u32_e32 v18, 0x138, v14
	v_add_nc_u32_e32 v20, 0x16c, v14
	v_add_nc_u32_e32 v22, 0x1a0, v14
	v_add_nc_u32_e32 v24, 0x1d4, v14
	v_add_nc_u32_e32 v26, 0x208, v14
	v_add_nc_u32_e32 v28, 0x23c, v14
.LBB0_11:
	s_andn2_saveexec_b32 s1, s0
	s_cbranch_execz .LBB0_13
; %bb.12:
	s_add_u32 s4, s16, s4
	s_addc_u32 s5, s17, s5
	v_lshlrev_b64 v[1:2], 2, v[1:2]
	s_load_dwordx2 s[4:5], s[4:5], 0x0
	s_waitcnt lgkmcnt(0)
	v_mul_lo_u32 v6, s5, v16
	v_mul_lo_u32 v7, s4, v17
	v_mad_u64_u32 v[4:5], null, s4, v16, 0
	v_add3_u32 v5, v5, v7, v6
	v_mul_u32_u24_e32 v6, 52, v3
	v_lshlrev_b64 v[3:4], 2, v[4:5]
	v_sub_nc_u32_e32 v14, v0, v6
	v_lshlrev_b32_e32 v8, 2, v14
	v_add_co_u32 v0, s0, s8, v3
	v_add_co_ci_u32_e64 v3, s0, s9, v4, s0
	v_add_nc_u32_e32 v29, 52, v14
	v_add_co_u32 v4, s0, v0, v1
	v_add_co_ci_u32_e64 v3, s0, v3, v2, s0
	v_or_b32_e32 v2, 0xd00, v8
	v_add_co_u32 v0, s0, v4, v8
	v_add_co_ci_u32_e64 v1, s0, 0, v3, s0
	v_add_co_u32 v2, s0, v4, v2
	v_add_co_ci_u32_e64 v3, s0, 0, v3, s0
	;; [unrolled: 2-line block ×3, first 2 shown]
	v_add_co_u32 v6, s0, 0x1000, v0
	s_clause 0x7
	global_load_dword v9, v[0:1], off
	global_load_dword v10, v[0:1], off offset:208
	global_load_dword v11, v[0:1], off offset:416
	;; [unrolled: 1-line block ×7, first 2 shown]
	v_add_co_ci_u32_e64 v7, s0, 0, v1, s0
	s_clause 0xf
	global_load_dword v27, v[0:1], off offset:1664
	global_load_dword v0, v[0:1], off offset:1872
	;; [unrolled: 1-line block ×14, first 2 shown]
	global_load_dword v2, v[2:3], off
	global_load_dword v3, v[4:5], off offset:1904
	v_add_nc_u32_e32 v4, 0, v8
	v_add_nc_u32_e32 v31, 0x68, v14
	v_add_nc_u32_e32 v33, 0x9c, v14
	v_add_nc_u32_e32 v35, 0xd0, v14
	v_add_nc_u32_e32 v37, 0x104, v14
	v_add_nc_u32_e32 v18, 0x138, v14
	v_add_nc_u32_e32 v20, 0x16c, v14
	v_add_nc_u32_e32 v22, 0x1a0, v14
	v_add_nc_u32_e32 v24, 0x1d4, v14
	v_add_nc_u32_e32 v26, 0x208, v14
	v_add_nc_u32_e32 v28, 0x23c, v14
	v_add_nc_u32_e32 v5, 0x200, v4
	v_add_nc_u32_e32 v7, 0x400, v4
	v_add_nc_u32_e32 v8, 0x800, v4
	v_add_nc_u32_e32 v44, 0xa00, v4
	v_add_nc_u32_e32 v45, 0xc00, v4
	v_add_nc_u32_e32 v46, 0x1000, v4
	s_waitcnt vmcnt(22)
	ds_write2_b32 v4, v9, v10 offset1:52
	s_waitcnt vmcnt(20)
	ds_write2_b32 v4, v11, v15 offset0:104 offset1:156
	s_waitcnt vmcnt(18)
	ds_write2_b32 v5, v19, v21 offset0:80 offset1:132
	;; [unrolled: 2-line block ×9, first 2 shown]
	ds_write2_b32 v46, v41, v42 offset0:16 offset1:68
	ds_write2_b32 v46, v43, v6 offset0:120 offset1:172
.LBB0_13:
	s_or_b32 exec_lo, exec_lo, s1
	v_lshlrev_b32_e32 v66, 2, v14
	s_load_dwordx2 s[2:3], s[2:3], 0x0
	s_waitcnt lgkmcnt(0)
	s_barrier
	buffer_gl0_inv
	v_add_nc_u32_e32 v65, 0, v66
	v_lshl_add_u32 v15, v29, 3, 0
	v_lshl_add_u32 v19, v31, 3, 0
	v_lshl_add_u32 v21, v33, 3, 0
	v_lshl_add_u32 v23, v35, 3, 0
	v_add_nc_u32_e32 v2, 0x800, v65
	ds_read2_b32 v[6:7], v65 offset1:52
	v_add_nc_u32_e32 v1, 0xa00, v65
	v_add_nc_u32_e32 v0, 0x1000, v65
	;; [unrolled: 1-line block ×3, first 2 shown]
	ds_read2_b32 v[8:9], v65 offset0:104 offset1:156
	ds_read2_b32 v[10:11], v2 offset0:112 offset1:164
	;; [unrolled: 1-line block ×5, first 2 shown]
	v_add_nc_u32_e32 v4, 0xc00, v65
	ds_read2_b32 v[44:45], v3 offset0:160 offset1:212
	ds_read2_b32 v[46:47], v0 offset0:16 offset1:68
	v_add_nc_u32_e32 v5, 0x200, v65
	ds_read2_b32 v[48:49], v3 offset0:56 offset1:108
	ds_read2_b32 v[50:51], v4 offset0:168 offset1:220
	ds_read2_b32 v[52:53], v5 offset0:80 offset1:132
	ds_read2_b32 v[54:55], v4 offset0:64 offset1:116
	v_add_nc_u32_e32 v30, v65, v66
	s_waitcnt lgkmcnt(0)
	s_barrier
	buffer_gl0_inv
	v_lshl_add_u32 v25, v37, 3, 0
	v_lshl_add_u32 v27, v18, 3, 0
	;; [unrolled: 1-line block ×4, first 2 shown]
	v_pk_add_f16 v10, v6, v10 neg_lo:[0,1] neg_hi:[0,1]
	v_pk_add_f16 v11, v7, v11 neg_lo:[0,1] neg_hi:[0,1]
	;; [unrolled: 1-line block ×5, first 2 shown]
	v_pk_fma_f16 v6, v6, 2.0, v10 op_sel_hi:[1,0,1] neg_lo:[0,0,1] neg_hi:[0,0,1]
	v_pk_fma_f16 v7, v7, 2.0, v11 op_sel_hi:[1,0,1] neg_lo:[0,0,1] neg_hi:[0,0,1]
	v_pk_add_f16 v46, v44, v46 neg_lo:[0,1] neg_hi:[0,1]
	v_pk_add_f16 v43, v45, v47 neg_lo:[0,1] neg_hi:[0,1]
	ds_write2_b32 v30, v6, v10 offset1:1
	ds_write2_b32 v15, v7, v11 offset1:1
	v_pk_add_f16 v11, v9, v39 neg_lo:[0,1] neg_hi:[0,1]
	v_pk_fma_f16 v7, v40, 2.0, v42 op_sel_hi:[1,0,1] neg_lo:[0,0,1] neg_hi:[0,0,1]
	v_pk_add_f16 v40, v52, v54 neg_lo:[0,1] neg_hi:[0,1]
	v_pk_fma_f16 v8, v8, 2.0, v32 op_sel_hi:[1,0,1] neg_lo:[0,0,1] neg_hi:[0,0,1]
	;; [unrolled: 2-line block ×5, first 2 shown]
	v_pk_fma_f16 v47, v52, 2.0, v40 op_sel_hi:[1,0,1] neg_lo:[0,0,1] neg_hi:[0,0,1]
	ds_write2_b32 v19, v8, v32 offset1:1
	v_pk_fma_f16 v8, v45, 2.0, v43 op_sel_hi:[1,0,1] neg_lo:[0,0,1] neg_hi:[0,0,1]
	v_pk_fma_f16 v45, v53, 2.0, v15 op_sel_hi:[1,0,1] neg_lo:[0,0,1] neg_hi:[0,0,1]
	;; [unrolled: 1-line block ×3, first 2 shown]
	v_lshl_add_u32 v30, v20, 3, 0
	v_pk_fma_f16 v49, v49, 2.0, v41 op_sel_hi:[1,0,1] neg_lo:[0,0,1] neg_hi:[0,0,1]
	ds_write2_b32 v21, v9, v11 offset1:1
	ds_write2_b32 v23, v47, v40 offset1:1
	;; [unrolled: 1-line block ×4, first 2 shown]
	v_and_b32_e32 v9, 1, v14
	v_lshl_add_u32 v32, v22, 3, 0
	v_lshl_add_u32 v39, v28, 3, 0
	ds_write2_b32 v30, v49, v41 offset1:1
	ds_write2_b32 v32, v10, v46 offset1:1
	;; [unrolled: 1-line block ×4, first 2 shown]
	v_lshlrev_b32_e32 v7, 2, v9
	ds_write2_b32 v39, v6, v38 offset1:1
	s_waitcnt lgkmcnt(0)
	s_barrier
	buffer_gl0_inv
	global_load_dword v15, v7, s[12:13]
	v_lshlrev_b32_e32 v38, 1, v14
	v_lshlrev_b32_e32 v40, 1, v29
	;; [unrolled: 1-line block ×22, first 2 shown]
	v_and_or_b32 v46, 0x7c, v38, v9
	v_and_or_b32 v57, 0xfc, v40, v9
	;; [unrolled: 1-line block ×12, first 2 shown]
	v_sub_nc_u32_e32 v47, v19, v70
	v_sub_nc_u32_e32 v49, v23, v72
	;; [unrolled: 1-line block ×8, first 2 shown]
	v_lshl_add_u32 v67, v29, 2, 0
	v_sub_nc_u32_e32 v48, v21, v71
	v_sub_nc_u32_e32 v50, v25, v73
	v_lshl_add_u32 v58, v46, 2, 0
	v_lshl_add_u32 v59, v6, 2, 0
	;; [unrolled: 1-line block ×11, first 2 shown]
	ds_read2_b32 v[6:7], v0 offset0:120 offset1:172
	ds_read2_b32 v[8:9], v0 offset0:16 offset1:68
	;; [unrolled: 1-line block ×6, first 2 shown]
	ds_read_b32 v82, v48
	ds_read_b32 v49, v49
	;; [unrolled: 1-line block ×12, first 2 shown]
	v_lshl_add_u32 v57, v57, 2, 0
	v_add_nc_u32_e32 v81, 0xe00, v65
	s_waitcnt vmcnt(0) lgkmcnt(0)
	s_barrier
	buffer_gl0_inv
	v_cmp_gt_u32_e64 s0, 44, v14
	v_pk_mul_f16 v95, v15, v45 op_sel:[0,1]
	v_pk_mul_f16 v96, v15, v46 op_sel:[0,1]
	;; [unrolled: 1-line block ×12, first 2 shown]
	v_pk_fma_f16 v100, v15, v45, v95 op_sel:[0,0,1] op_sel_hi:[1,1,0]
	v_pk_fma_f16 v45, v15, v45, v95 op_sel:[0,0,1] op_sel_hi:[1,0,0] neg_lo:[1,0,0] neg_hi:[1,0,0]
	v_pk_fma_f16 v95, v15, v46, v96 op_sel:[0,0,1] op_sel_hi:[1,1,0]
	v_pk_fma_f16 v46, v15, v46, v96 op_sel:[0,0,1] op_sel_hi:[1,0,0] neg_lo:[1,0,0] neg_hi:[1,0,0]
	;; [unrolled: 2-line block ×12, first 2 shown]
	v_bfi_b32 v41, 0xffff, v100, v45
	v_bfi_b32 v45, 0xffff, v95, v46
	;; [unrolled: 1-line block ×12, first 2 shown]
	v_pk_add_f16 v86, v84, v41 neg_lo:[0,1] neg_hi:[0,1]
	v_pk_add_f16 v87, v85, v45 neg_lo:[0,1] neg_hi:[0,1]
	;; [unrolled: 1-line block ×12, first 2 shown]
	v_pk_fma_f16 v6, v84, 2.0, v86 op_sel_hi:[1,0,1] neg_lo:[0,0,1] neg_hi:[0,0,1]
	v_pk_fma_f16 v7, v85, 2.0, v87 op_sel_hi:[1,0,1] neg_lo:[0,0,1] neg_hi:[0,0,1]
	;; [unrolled: 1-line block ×12, first 2 shown]
	ds_write2_b32 v58, v6, v86 offset1:2
	ds_write2_b32 v57, v7, v87 offset1:2
	;; [unrolled: 1-line block ×12, first 2 shown]
	s_waitcnt lgkmcnt(0)
	s_barrier
	buffer_gl0_inv
	ds_read2_b32 v[59:60], v5 offset0:64 offset1:160
	ds_read2_b32 v[55:56], v81 offset0:64 offset1:160
	ds_read_b32 v93, v65 offset:4608
	ds_read2_b32 v[53:54], v65 offset1:96
	ds_read2_b32 v[63:64], v3 offset0:128 offset1:224
	ds_read2_b32 v[61:62], v2 offset0:64 offset1:160
	ds_read2_b32 v[57:58], v4 offset1:96
	v_lshrrev_b32_e32 v86, 16, v48
	v_lshrrev_b32_e32 v82, 16, v44
	v_lshrrev_b32_e32 v80, 16, v42
	v_lshrrev_b32_e32 v84, 16, v46
	v_lshrrev_b32_e32 v88, 16, v50
	v_lshrrev_b32_e32 v68, 16, v15
	v_lshrrev_b32_e32 v85, 16, v47
	v_lshrrev_b32_e32 v81, 16, v43
	v_lshrrev_b32_e32 v83, 16, v41
	v_lshrrev_b32_e32 v87, 16, v45
	v_lshrrev_b32_e32 v90, 16, v49
                                        ; implicit-def: $vgpr91
                                        ; implicit-def: $vgpr89
                                        ; implicit-def: $vgpr52
	s_and_saveexec_b32 s1, s0
	s_cbranch_execz .LBB0_15
; %bb.14:
	ds_read_b32 v15, v67
	ds_read2_b32 v[49:50], v65 offset0:148 offset1:244
	ds_read2_b32 v[45:46], v3 offset0:84 offset1:180
	;; [unrolled: 1-line block ×6, first 2 shown]
	s_waitcnt lgkmcnt(6)
	v_lshrrev_b32_e32 v68, 16, v15
	s_waitcnt lgkmcnt(5)
	v_lshrrev_b32_e32 v90, 16, v49
	v_lshrrev_b32_e32 v88, 16, v50
	s_waitcnt lgkmcnt(4)
	v_lshrrev_b32_e32 v87, 16, v45
	;; [unrolled: 3-line block ×6, first 2 shown]
	v_lshrrev_b32_e32 v91, 16, v52
.LBB0_15:
	s_or_b32 exec_lo, exec_lo, s1
	v_and_b32_e32 v69, 3, v14
	s_waitcnt lgkmcnt(3)
	v_lshrrev_b32_e32 v105, 16, v54
	v_lshrrev_b32_e32 v94, 16, v56
	;; [unrolled: 1-line block ×4, first 2 shown]
	v_mul_u32_u24_e32 v0, 12, v69
	v_sub_nc_u32_e32 v79, 0, v70
	v_sub_nc_u32_e32 v70, 0, v71
	;; [unrolled: 1-line block ×4, first 2 shown]
	v_lshlrev_b32_e32 v8, 2, v0
	v_sub_nc_u32_e32 v73, 0, v74
	v_sub_nc_u32_e32 v74, 0, v75
	v_sub_nc_u32_e32 v75, 0, v76
	v_sub_nc_u32_e32 v76, 0, v77
	s_clause 0x2
	global_load_dwordx4 v[4:7], v8, s[12:13] offset:8
	global_load_dwordx4 v[0:3], v8, s[12:13] offset:24
	;; [unrolled: 1-line block ×3, first 2 shown]
	v_sub_nc_u32_e32 v77, 0, v78
	v_sub_nc_u32_e32 v78, 0, v92
	v_lshrrev_b32_e32 v103, 16, v60
	s_waitcnt lgkmcnt(2)
	v_lshrrev_b32_e32 v101, 16, v64
	s_waitcnt lgkmcnt(1)
	v_lshrrev_b32_e32 v99, 16, v62
	v_lshrrev_b32_e32 v102, 16, v63
	s_waitcnt lgkmcnt(0)
	v_lshrrev_b32_e32 v97, 16, v58
	v_lshrrev_b32_e32 v100, 16, v61
	;; [unrolled: 1-line block ×4, first 2 shown]
	s_waitcnt vmcnt(0)
	s_barrier
	buffer_gl0_inv
	v_mul_f16_sdwa v92, v4, v105 dst_sel:DWORD dst_unused:UNUSED_PAD src0_sel:WORD_1 src1_sel:DWORD
	v_mul_f16_sdwa v106, v4, v54 dst_sel:DWORD dst_unused:UNUSED_PAD src0_sel:WORD_1 src1_sel:DWORD
	;; [unrolled: 1-line block ×4, first 2 shown]
	v_mul_f16_sdwa v125, v94, v10 dst_sel:DWORD dst_unused:UNUSED_PAD src0_sel:DWORD src1_sel:WORD_1
	v_mul_f16_sdwa v126, v56, v10 dst_sel:DWORD dst_unused:UNUSED_PAD src0_sel:DWORD src1_sel:WORD_1
	;; [unrolled: 1-line block ×4, first 2 shown]
	v_fmac_f16_e32 v92, v4, v54
	v_fma_f16 v54, v4, v105, -v106
	v_mul_f16_sdwa v109, v6, v103 dst_sel:DWORD dst_unused:UNUSED_PAD src0_sel:WORD_1 src1_sel:DWORD
	v_mul_f16_sdwa v110, v6, v60 dst_sel:DWORD dst_unused:UNUSED_PAD src0_sel:WORD_1 src1_sel:DWORD
	;; [unrolled: 1-line block ×6, first 2 shown]
	v_fmac_f16_e32 v107, v5, v59
	v_fma_f16 v59, v5, v104, -v108
	v_fmac_f16_e32 v125, v56, v10
	v_fmac_f16_e32 v127, v93, v11
	v_fma_f16 v56, v95, v11, -v128
	v_fma_f16 v93, v94, v10, -v126
	v_add_f16_sdwa v95, v54, v53 dst_sel:DWORD dst_unused:UNUSED_PAD src0_sel:DWORD src1_sel:WORD_1
	v_mul_f16_sdwa v111, v7, v102 dst_sel:DWORD dst_unused:UNUSED_PAD src0_sel:WORD_1 src1_sel:DWORD
	v_mul_f16_sdwa v112, v7, v63 dst_sel:DWORD dst_unused:UNUSED_PAD src0_sel:WORD_1 src1_sel:DWORD
	v_fmac_f16_e32 v109, v6, v60
	v_fma_f16 v60, v6, v103, -v110
	v_fmac_f16_e32 v113, v0, v64
	v_fma_f16 v64, v0, v101, -v114
	;; [unrolled: 2-line block ×3, first 2 shown]
	v_add_f16_e32 v99, v59, v93
	v_sub_f16_e32 v101, v59, v93
	v_add_f16_e32 v59, v95, v59
	v_fmac_f16_e32 v111, v7, v63
	v_fma_f16 v63, v7, v102, -v112
	v_mul_f16_sdwa v115, v1, v100 dst_sel:DWORD dst_unused:UNUSED_PAD src0_sel:WORD_1 src1_sel:DWORD
	v_mul_f16_sdwa v116, v1, v61 dst_sel:DWORD dst_unused:UNUSED_PAD src0_sel:WORD_1 src1_sel:DWORD
	v_add_f16_e32 v59, v59, v60
	v_mul_f16_sdwa v121, v97, v8 dst_sel:DWORD dst_unused:UNUSED_PAD src0_sel:DWORD src1_sel:WORD_1
	v_mul_f16_sdwa v122, v58, v8 dst_sel:DWORD dst_unused:UNUSED_PAD src0_sel:DWORD src1_sel:WORD_1
	v_mul_f16_sdwa v119, v3, v98 dst_sel:DWORD dst_unused:UNUSED_PAD src0_sel:WORD_1 src1_sel:DWORD
	v_mul_f16_sdwa v120, v3, v57 dst_sel:DWORD dst_unused:UNUSED_PAD src0_sel:WORD_1 src1_sel:DWORD
	v_add_f16_e32 v59, v59, v63
	v_mul_f16_sdwa v123, v96, v9 dst_sel:DWORD dst_unused:UNUSED_PAD src0_sel:DWORD src1_sel:WORD_1
	v_mul_f16_sdwa v124, v55, v9 dst_sel:DWORD dst_unused:UNUSED_PAD src0_sel:DWORD src1_sel:WORD_1
	v_fmac_f16_e32 v115, v1, v61
	v_fma_f16 v61, v1, v100, -v116
	v_fmac_f16_e32 v121, v58, v8
	v_fma_f16 v58, v97, v8, -v122
	v_add_f16_e32 v94, v92, v53
	v_add_f16_e32 v97, v54, v56
	v_sub_f16_e32 v54, v54, v56
	v_add_f16_e32 v59, v59, v64
	v_fmac_f16_e32 v119, v3, v57
	v_fma_f16 v57, v3, v98, -v120
	v_fmac_f16_e32 v123, v55, v9
	v_fma_f16 v55, v96, v9, -v124
	v_add_f16_e32 v96, v92, v127
	v_sub_f16_e32 v92, v92, v127
	v_add_f16_e32 v98, v107, v125
	v_sub_f16_e32 v100, v107, v125
	v_add_f16_e32 v94, v94, v107
	v_mul_f16_e32 v95, 0xb770, v54
	v_mul_f16_e32 v107, 0x3b15, v97
	;; [unrolled: 1-line block ×8, first 2 shown]
	v_add_f16_e32 v59, v59, v61
	v_sub_f16_e32 v102, v60, v55
	v_add_f16_e32 v104, v60, v55
	v_mul_f16_e32 v130, 0xb5ac, v97
	v_mul_f16_e32 v132, 0xb9fd, v97
	;; [unrolled: 1-line block ×13, first 2 shown]
	v_fmamk_f16 v173, v96, 0x3b15, v95
	v_fmamk_f16 v174, v92, 0x3770, v107
	v_fma_f16 v95, v96, 0x3b15, -v95
	v_fmac_f16_e32 v107, 0xb770, v92
	v_fmamk_f16 v175, v96, 0x388b, v122
	v_fmamk_f16 v176, v92, 0x3a95, v124
	v_fma_f16 v122, v96, 0x388b, -v122
	v_fmac_f16_e32 v124, 0xba95, v92
	v_fmamk_f16 v177, v96, 0x2fb7, v126
	v_fmamk_f16 v178, v92, 0x3bf1, v128
	v_fmac_f16_e32 v128, 0xbbf1, v92
	v_fmamk_f16 v179, v96, 0xb5ac, v129
	v_fma_f16 v129, v96, 0xb5ac, -v129
	v_fmamk_f16 v181, v96, 0xb9fd, v131
	v_add_f16_e32 v59, v59, v62
	v_add_f16_e32 v103, v109, v123
	v_sub_f16_e32 v105, v109, v123
	v_sub_f16_e32 v106, v63, v58
	v_add_f16_e32 v110, v63, v58
	v_sub_f16_e32 v116, v64, v57
	v_add_f16_e32 v118, v64, v57
	v_mul_f16_e32 v140, 0xb9fd, v99
	v_mul_f16_e32 v142, 0x2fb7, v99
	;; [unrolled: 1-line block ×12, first 2 shown]
	v_fma_f16 v126, v96, 0x2fb7, -v126
	v_fmamk_f16 v180, v92, 0x3b7b, v130
	v_fmac_f16_e32 v130, 0xbb7b, v92
	v_fmamk_f16 v182, v92, 0x394e, v132
	v_fma_f16 v131, v96, 0xb9fd, -v131
	v_fmac_f16_e32 v132, 0xb94e, v92
	v_fmamk_f16 v183, v96, 0xbbc4, v54
	v_fmamk_f16 v184, v92, 0x33a8, v97
	v_fma_f16 v54, v96, 0xbbc4, -v54
	v_fmac_f16_e32 v97, 0xb3a8, v92
	v_fmamk_f16 v92, v98, 0x388b, v133
	v_fmamk_f16 v96, v100, 0x3a95, v134
	v_fma_f16 v133, v98, 0x388b, -v133
	v_fmac_f16_e32 v134, 0xba95, v100
	v_fmamk_f16 v185, v98, 0xb5ac, v135
	v_fma_f16 v135, v98, 0xb5ac, -v135
	v_fmamk_f16 v186, v98, 0xbbc4, v137
	v_fma_f16 v137, v98, 0xbbc4, -v137
	v_fmamk_f16 v187, v98, 0xb9fd, v139
	;; [unrolled: 2-line block ×5, first 2 shown]
	v_fmac_f16_e32 v136, 0xbb7b, v100
	v_fmamk_f16 v190, v100, 0x33a8, v138
	v_fmac_f16_e32 v138, 0xb3a8, v100
	v_add_f16_e32 v60, v94, v109
	v_add_f16_e32 v173, v173, v53
	v_add_f16_sdwa v174, v174, v53 dst_sel:DWORD dst_unused:UNUSED_PAD src0_sel:DWORD src1_sel:WORD_1
	v_add_f16_e32 v95, v95, v53
	v_add_f16_sdwa v107, v107, v53 dst_sel:DWORD dst_unused:UNUSED_PAD src0_sel:DWORD src1_sel:WORD_1
	;; [unrolled: 2-line block ×5, first 2 shown]
	v_add_f16_e32 v179, v179, v53
	v_add_f16_e32 v129, v129, v53
	;; [unrolled: 1-line block ×5, first 2 shown]
	v_sub_f16_e32 v112, v111, v121
	v_mul_f16_e32 v151, 0x3b15, v104
	v_mul_f16_e32 v152, 0x388b, v104
	;; [unrolled: 1-line block ×11, first 2 shown]
	v_fmamk_f16 v191, v100, 0xb94e, v140
	v_fmac_f16_e32 v140, 0x394e, v100
	v_fmamk_f16 v192, v100, 0xbbf1, v142
	v_fmac_f16_e32 v142, 0x3bf1, v100
	;; [unrolled: 2-line block ×3, first 2 shown]
	v_fmamk_f16 v100, v103, 0x2fb7, v143
	v_fma_f16 v143, v103, 0x2fb7, -v143
	v_fmamk_f16 v194, v103, 0xbbc4, v144
	v_fma_f16 v144, v103, 0xbbc4, -v144
	v_fmamk_f16 v195, v103, 0xb5ac, v145
	v_fma_f16 v145, v103, 0xb5ac, -v145
	v_fmamk_f16 v196, v103, 0x3b15, v146
	v_fma_f16 v146, v103, 0x3b15, -v146
	v_fmamk_f16 v197, v103, 0x388b, v147
	v_fma_f16 v147, v103, 0x388b, -v147
	v_fmamk_f16 v198, v103, 0xb9fd, v102
	v_fma_f16 v102, v103, 0xb9fd, -v102
	v_fmamk_f16 v94, v105, 0x3bf1, v148
	v_fmac_f16_e32 v148, 0xbbf1, v105
	v_fmamk_f16 v103, v105, 0x33a8, v149
	v_fmac_f16_e32 v149, 0xb3a8, v105
	;; [unrolled: 2-line block ×3, first 2 shown]
	v_add_f16_sdwa v178, v178, v53 dst_sel:DWORD dst_unused:UNUSED_PAD src0_sel:DWORD src1_sel:WORD_1
	v_add_f16_e32 v126, v126, v53
	v_add_f16_sdwa v180, v180, v53 dst_sel:DWORD dst_unused:UNUSED_PAD src0_sel:DWORD src1_sel:WORD_1
	v_add_f16_sdwa v130, v130, v53 dst_sel:DWORD dst_unused:UNUSED_PAD src0_sel:DWORD src1_sel:WORD_1
	v_add_f16_sdwa v182, v182, v53 dst_sel:DWORD dst_unused:UNUSED_PAD src0_sel:DWORD src1_sel:WORD_1
	v_add_f16_e32 v131, v131, v53
	v_add_f16_sdwa v132, v132, v53 dst_sel:DWORD dst_unused:UNUSED_PAD src0_sel:DWORD src1_sel:WORD_1
	v_add_f16_e32 v183, v183, v53
	v_add_f16_sdwa v184, v184, v53 dst_sel:DWORD dst_unused:UNUSED_PAD src0_sel:DWORD src1_sel:WORD_1
	;; [unrolled: 2-line block ×3, first 2 shown]
	v_add_f16_e32 v60, v60, v111
	v_add_f16_e32 v63, v92, v173
	;; [unrolled: 1-line block ×16, first 2 shown]
	v_mul_f16_e32 v159, 0xb9fd, v110
	v_mul_f16_e32 v161, 0x2fb7, v110
	;; [unrolled: 1-line block ×5, first 2 shown]
	v_fmamk_f16 v199, v105, 0xb770, v151
	v_fmac_f16_e32 v151, 0x3770, v105
	v_fmamk_f16 v200, v105, 0x3a95, v152
	v_fmac_f16_e32 v152, 0xba95, v105
	;; [unrolled: 2-line block ×3, first 2 shown]
	v_fmamk_f16 v105, v108, 0xb5ac, v153
	v_fma_f16 v153, v108, 0xb5ac, -v153
	v_fmamk_f16 v202, v108, 0xb9fd, v154
	v_fma_f16 v154, v108, 0xb9fd, -v154
	;; [unrolled: 2-line block ×6, first 2 shown]
	v_fmamk_f16 v108, v112, 0x3b7b, v158
	v_fmamk_f16 v208, v112, 0xb770, v160
	v_fmac_f16_e32 v160, 0x3770, v112
	v_add_f16_e32 v124, v190, v178
	v_add_f16_e32 v126, v137, v126
	;; [unrolled: 1-line block ×20, first 2 shown]
	v_sub_f16_e32 v120, v113, v119
	v_mul_f16_e32 v162, 0xbbc4, v110
	v_mul_f16_e32 v110, 0x388b, v110
	;; [unrolled: 1-line block ×8, first 2 shown]
	v_fmac_f16_e32 v158, 0xbb7b, v112
	v_fmamk_f16 v207, v112, 0xb94e, v159
	v_fmac_f16_e32 v159, 0x394e, v112
	v_fmamk_f16 v209, v112, 0x3bf1, v161
	v_fmamk_f16 v215, v114, 0x388b, v167
	;; [unrolled: 1-line block ×3, first 2 shown]
	v_fma_f16 v169, v114, 0xbbc4, -v169
	v_fmamk_f16 v219, v114, 0x3b15, v171
	v_add_f16_e32 v130, v140, v130
	v_add_f16_e32 v136, v192, v182
	v_add_f16_e32 v132, v142, v132
	v_add_f16_e32 v100, v109, v124
	v_add_f16_e32 v101, v145, v126
	v_add_f16_e32 v109, v199, v134
	v_add_f16_e32 v126, v147, v131
	v_add_f16_e32 v54, v102, v54
	v_add_f16_e32 v63, v105, v63
	v_add_f16_e32 v64, v108, v64
	v_add_f16_e32 v99, v203, v99
	v_add_f16_e32 v102, v160, v103
	v_add_f16_e32 v103, v204, v107
	v_add_f16_e32 v105, v156, v111
	v_add_f16_e32 v108, v205, v122
	v_add_f16_e32 v55, v55, v93
	v_mul_f16_e32 v172, 0x3b15, v118
	v_fmac_f16_e32 v161, 0xbbf1, v112
	v_fmamk_f16 v210, v112, 0xb3a8, v162
	v_fmac_f16_e32 v162, 0x33a8, v112
	v_fmamk_f16 v211, v112, 0xba95, v110
	;; [unrolled: 2-line block ×3, first 2 shown]
	v_fmamk_f16 v212, v120, 0x394e, v164
	v_fma_f16 v163, v114, 0xb9fd, -v163
	v_fmac_f16_e32 v164, 0xb94e, v120
	v_fmamk_f16 v213, v114, 0x2fb7, v165
	v_fmamk_f16 v214, v120, 0xbbf1, v166
	v_fma_f16 v165, v114, 0x2fb7, -v165
	v_fmac_f16_e32 v166, 0x3bf1, v120
	v_fmamk_f16 v216, v120, 0x3a95, v168
	v_fma_f16 v167, v114, 0x388b, -v167
	v_fmamk_f16 v218, v120, 0xb3a8, v170
	v_add_f16_e32 v60, v60, v113
	v_add_f16_e32 v113, v151, v130
	v_add_f16_e32 v124, v200, v136
	v_add_f16_e32 v128, v152, v132
	v_add_f16_e32 v53, v104, v53
	v_add_f16_e32 v92, v153, v92
	v_add_f16_e32 v94, v158, v94
	v_add_f16_e32 v95, v202, v95
	v_add_f16_e32 v96, v207, v96
	v_add_f16_e32 v97, v154, v97
	v_add_f16_e32 v98, v159, v98
	v_add_f16_e32 v100, v208, v100
	v_add_f16_e32 v101, v155, v101
	v_add_f16_e32 v104, v209, v109
	v_add_f16_e32 v111, v157, v126
	v_add_f16_e32 v57, v215, v99
	v_add_f16_e32 v99, v217, v103
	v_add_f16_e32 v55, v55, v56
	v_add_f16_e32 v56, v169, v105
	v_add_f16_e32 v103, v219, v108
	v_fma_f16 v105, v114, 0x3b15, -v171
	v_sub_f16_e32 v108, v61, v62
	v_fmac_f16_e32 v168, 0xba95, v120
	v_fmac_f16_e32 v170, 0x33a8, v120
	v_add_f16_e32 v107, v161, v113
	v_add_f16_e32 v109, v210, v124
	;; [unrolled: 1-line block ×15, first 2 shown]
	v_fmamk_f16 v101, v120, 0xb770, v172
	v_mul_f16_e32 v104, 0xbb7b, v116
	v_mul_f16_e32 v106, 0xb5ac, v118
	v_fmac_f16_e32 v172, 0x3770, v120
	v_add_f16_e32 v105, v105, v111
	v_add_f16_e32 v111, v115, v117
	v_mul_f16_e32 v112, 0xb3a8, v108
	v_add_f16_e32 v61, v61, v62
	v_add_f16_e32 v53, v110, v53
	;; [unrolled: 1-line block ×5, first 2 shown]
	v_fmamk_f16 v107, v114, 0xb5ac, v104
	v_fmamk_f16 v109, v120, 0x3b7b, v106
	v_add_f16_e32 v110, v172, v113
	v_fma_f16 v62, v114, 0xb5ac, -v104
	v_fmac_f16_e32 v106, 0xbb7b, v120
	v_fmamk_f16 v104, v111, 0xbbc4, v112
	v_sub_f16_e32 v113, v115, v117
	v_mul_f16_e32 v114, 0xbbc4, v61
	v_add_f16_e32 v54, v62, v54
	v_add_f16_e32 v53, v106, v53
	;; [unrolled: 1-line block ×3, first 2 shown]
	v_mul_f16_e32 v62, 0x3770, v108
	v_fmamk_f16 v104, v113, 0x33a8, v114
	v_fma_f16 v106, v111, 0xbbc4, -v112
	v_mul_f16_e32 v112, 0x3b15, v61
	v_add_f16_e32 v60, v60, v115
	v_fmamk_f16 v115, v111, 0x3b15, v62
	v_add_f16_e32 v63, v104, v63
	v_add_f16_e32 v64, v106, v64
	v_fmamk_f16 v104, v113, 0xb770, v112
	v_fma_f16 v62, v111, 0x3b15, -v62
	v_mul_f16_e32 v106, 0xb94e, v108
	v_fmac_f16_e32 v112, 0x3770, v113
	v_add_f16_e32 v60, v60, v117
	v_fmac_f16_e32 v114, 0xb3a8, v113
	v_add_f16_e32 v58, v104, v58
	v_mul_f16_e32 v104, 0xb9fd, v61
	v_add_f16_e32 v62, v62, v95
	v_fmamk_f16 v95, v111, 0xb9fd, v106
	v_add_f16_e32 v96, v112, v96
	v_mul_f16_e32 v112, 0x3a95, v108
	v_fma_f16 v106, v111, 0xb9fd, -v106
	v_add_f16_e32 v60, v60, v119
	v_add_f16_e32 v92, v114, v92
	v_fmamk_f16 v114, v113, 0x394e, v104
	v_add_f16_e32 v57, v95, v57
	v_fmamk_f16 v95, v111, 0x388b, v112
	v_add_f16_e32 v98, v106, v98
	v_mul_f16_e32 v106, 0x388b, v61
	v_add_f16_e32 v60, v60, v121
	v_fmac_f16_e32 v104, 0xb94e, v113
	v_add_f16_e32 v97, v114, v97
	v_add_f16_e32 v95, v95, v99
	v_mul_f16_e32 v99, 0xbb7b, v108
	v_fmamk_f16 v114, v113, 0xba95, v106
	v_fmac_f16_e32 v106, 0x3a95, v113
	v_add_f16_e32 v137, v189, v183
	v_add_f16_e32 v138, v193, v184
	;; [unrolled: 1-line block ×5, first 2 shown]
	v_mul_f16_e32 v104, 0xb5ac, v61
	v_fmamk_f16 v115, v111, 0xb5ac, v99
	v_add_f16_e32 v102, v106, v102
	v_fma_f16 v99, v111, 0xb5ac, -v99
	v_lshrrev_b32_e32 v106, 2, v14
	v_add_f16_e32 v129, v198, v137
	v_add_f16_e32 v130, v201, v138
	;; [unrolled: 1-line block ×3, first 2 shown]
	v_fmamk_f16 v116, v113, 0x3b7b, v104
	v_fmac_f16_e32 v104, 0xbb7b, v113
	v_mul_f16_e32 v61, 0x2fb7, v61
	v_add_f16_e32 v99, v99, v105
	v_mul_u32_u24_e32 v105, 52, v106
	v_add_f16_e32 v122, v206, v129
	v_add_f16_e32 v124, v211, v130
	v_mul_f16_e32 v108, 0x3bf1, v108
	v_add_f16_e32 v60, v60, v127
	v_add_f16_e32 v104, v104, v110
	v_fmamk_f16 v110, v113, 0xbbf1, v61
	v_fmac_f16_e32 v61, 0x3bf1, v113
	v_or_b32_e32 v105, v105, v69
	v_add_f16_e32 v107, v107, v122
	v_add_f16_e32 v109, v109, v124
	v_fmamk_f16 v106, v111, 0x2fb7, v108
	v_fma_f16 v108, v111, 0x2fb7, -v108
	v_fma_f16 v112, v111, 0x388b, -v112
	v_add_f16_e32 v100, v114, v100
	v_add_f16_e32 v103, v115, v103
	;; [unrolled: 1-line block ×4, first 2 shown]
	v_lshl_add_u32 v61, v105, 2, 0
	v_pack_b32_f16 v55, v60, v55
	v_pack_b32_f16 v59, v59, v63
	v_add_f16_e32 v106, v106, v107
	v_add_f16_e32 v107, v110, v109
	;; [unrolled: 1-line block ×3, first 2 shown]
	v_pack_b32_f16 v58, v94, v58
	v_pack_b32_f16 v57, v57, v97
	v_add_f16_e32 v56, v112, v56
	ds_write2_b32 v61, v55, v59 offset1:4
	ds_write2_b32 v61, v58, v57 offset0:8 offset1:12
	v_pack_b32_f16 v55, v95, v100
	v_pack_b32_f16 v57, v103, v101
	v_pack_b32_f16 v58, v106, v107
	v_pack_b32_f16 v53, v54, v53
	v_pack_b32_f16 v54, v99, v104
	v_pack_b32_f16 v56, v56, v102
	v_pack_b32_f16 v59, v98, v93
	v_pack_b32_f16 v60, v62, v96
	v_pack_b32_f16 v62, v64, v92
	ds_write2_b32 v61, v55, v57 offset0:16 offset1:20
	ds_write2_b32 v61, v58, v53 offset0:24 offset1:28
	;; [unrolled: 1-line block ×4, first 2 shown]
	ds_write_b32 v61, v62 offset:192
	s_and_saveexec_b32 s1, s0
	s_cbranch_execz .LBB0_17
; %bb.16:
	v_mul_f16_sdwa v54, v90, v4 dst_sel:DWORD dst_unused:UNUSED_PAD src0_sel:DWORD src1_sel:WORD_1
	v_mul_f16_sdwa v53, v91, v11 dst_sel:DWORD dst_unused:UNUSED_PAD src0_sel:DWORD src1_sel:WORD_1
	;; [unrolled: 1-line block ×5, first 2 shown]
	v_fmac_f16_e32 v54, v49, v4
	v_fmac_f16_e32 v53, v52, v11
	v_mul_f16_sdwa v52, v89, v10 dst_sel:DWORD dst_unused:UNUSED_PAD src0_sel:DWORD src1_sel:WORD_1
	v_fma_f16 v49, v91, v11, -v55
	v_fma_f16 v55, v90, v4, -v57
	v_mul_f16_sdwa v57, v51, v10 dst_sel:DWORD dst_unused:UNUSED_PAD src0_sel:DWORD src1_sel:WORD_1
	v_sub_f16_e32 v11, v54, v53
	v_fmac_f16_e32 v56, v50, v5
	v_fmac_f16_e32 v52, v51, v10
	v_mul_f16_sdwa v58, v50, v5 dst_sel:DWORD dst_unused:UNUSED_PAD src0_sel:DWORD src1_sel:WORD_1
	v_mul_f16_sdwa v51, v87, v6 dst_sel:DWORD dst_unused:UNUSED_PAD src0_sel:DWORD src1_sel:WORD_1
	;; [unrolled: 1-line block ×3, first 2 shown]
	v_add_f16_e32 v90, v55, v49
	v_mul_f16_e32 v97, 0xbbf1, v11
	v_sub_f16_e32 v4, v56, v52
	v_fma_f16 v10, v89, v10, -v57
	v_fma_f16 v57, v88, v5, -v58
	v_fmac_f16_e32 v51, v45, v6
	v_fmac_f16_e32 v50, v48, v9
	v_mul_f16_sdwa v48, v48, v9 dst_sel:DWORD dst_unused:UNUSED_PAD src0_sel:DWORD src1_sel:WORD_1
	v_mul_f16_sdwa v45, v45, v6 dst_sel:DWORD dst_unused:UNUSED_PAD src0_sel:DWORD src1_sel:WORD_1
	v_fmamk_f16 v59, v90, 0x2fb7, v97
	v_mul_f16_e32 v98, 0xb3a8, v4
	v_add_f16_e32 v88, v57, v10
	v_sub_f16_e32 v5, v51, v50
	v_fma_f16 v9, v86, v9, -v48
	v_fma_f16 v48, v87, v6, -v45
	v_add_f16_e32 v6, v68, v59
	v_fmamk_f16 v45, v88, 0xbbc4, v98
	v_mul_f16_e32 v99, 0x3b7b, v5
	v_mul_f16_sdwa v58, v84, v7 dst_sel:DWORD dst_unused:UNUSED_PAD src0_sel:DWORD src1_sel:WORD_1
	v_add_f16_e32 v86, v48, v9
	v_mul_f16_sdwa v61, v46, v7 dst_sel:DWORD dst_unused:UNUSED_PAD src0_sel:DWORD src1_sel:WORD_1
	v_add_f16_e32 v6, v45, v6
	v_mul_f16_sdwa v45, v85, v8 dst_sel:DWORD dst_unused:UNUSED_PAD src0_sel:DWORD src1_sel:WORD_1
	v_fmac_f16_e32 v58, v46, v7
	v_fmamk_f16 v59, v86, 0xb5ac, v99
	v_mul_f16_sdwa v60, v83, v0 dst_sel:DWORD dst_unused:UNUSED_PAD src0_sel:DWORD src1_sel:WORD_1
	v_fma_f16 v61, v84, v7, -v61
	v_fmac_f16_e32 v45, v47, v8
	v_sub_f16_e32 v91, v55, v49
	v_add_f16_e32 v87, v59, v6
	v_mul_f16_sdwa v59, v47, v8 dst_sel:DWORD dst_unused:UNUSED_PAD src0_sel:DWORD src1_sel:WORD_1
	v_mul_f16_sdwa v47, v82, v3 dst_sel:DWORD dst_unused:UNUSED_PAD src0_sel:DWORD src1_sel:WORD_1
	v_sub_f16_e32 v6, v58, v45
	v_fmac_f16_e32 v60, v41, v0
	v_mul_f16_sdwa v41, v41, v0 dst_sel:DWORD dst_unused:UNUSED_PAD src0_sel:DWORD src1_sel:WORD_1
	v_fma_f16 v46, v85, v8, -v59
	v_fmac_f16_e32 v47, v44, v3
	v_mul_f16_sdwa v8, v44, v3 dst_sel:DWORD dst_unused:UNUSED_PAD src0_sel:DWORD src1_sel:WORD_1
	v_mul_f16_e32 v100, 0x3770, v6
	v_fma_f16 v62, v83, v0, -v41
	v_add_f16_e32 v93, v61, v46
	v_sub_f16_e32 v7, v60, v47
	v_fma_f16 v59, v82, v3, -v8
	v_add_f16_e32 v3, v54, v53
	v_mul_f16_e32 v102, 0xbbf1, v91
	v_fmamk_f16 v0, v93, 0x3b15, v100
	v_mul_f16_e32 v101, 0xba95, v7
	v_add_f16_e32 v83, v62, v59
	v_sub_f16_e32 v84, v57, v10
	v_mul_f16_sdwa v64, v80, v1 dst_sel:DWORD dst_unused:UNUSED_PAD src0_sel:DWORD src1_sel:WORD_1
	v_add_f16_e32 v8, v0, v87
	v_mul_f16_sdwa v63, v81, v2 dst_sel:DWORD dst_unused:UNUSED_PAD src0_sel:DWORD src1_sel:WORD_1
	v_fmamk_f16 v41, v83, 0x388b, v101
	v_mul_f16_e32 v104, 0xb3a8, v84
	v_sub_f16_e32 v87, v48, v9
	v_fmac_f16_e32 v64, v42, v1
	v_fmac_f16_e32 v63, v43, v2
	v_add_f16_e32 v44, v41, v8
	v_fma_f16 v41, v3, 0x2fb7, -v102
	v_add_f16_e32 v8, v56, v52
	v_mul_f16_sdwa v43, v43, v2 dst_sel:DWORD dst_unused:UNUSED_PAD src0_sel:DWORD src1_sel:WORD_1
	v_mul_f16_sdwa v42, v42, v1 dst_sel:DWORD dst_unused:UNUSED_PAD src0_sel:DWORD src1_sel:WORD_1
	v_mul_f16_e32 v105, 0x3b7b, v87
	v_add_f16_e32 v92, v15, v41
	v_fma_f16 v94, v8, 0xbbc4, -v104
	v_add_f16_e32 v41, v51, v50
	v_sub_f16_e32 v89, v61, v46
	v_fma_f16 v82, v81, v2, -v43
	v_fma_f16 v85, v80, v1, -v42
	v_add_f16_e32 v1, v94, v92
	v_fma_f16 v42, v41, 0xb5ac, -v105
	v_add_f16_e32 v2, v58, v45
	v_mul_f16_e32 v106, 0x3770, v89
	v_sub_f16_e32 v92, v62, v59
	v_sub_f16_e32 v0, v64, v63
	v_mul_f16_e32 v107, 0xbb7b, v11
	v_add_f16_e32 v1, v42, v1
	v_fma_f16 v43, v2, 0x3b15, -v106
	v_add_f16_e32 v42, v60, v47
	v_mul_f16_e32 v108, 0xba95, v92
	v_mul_f16_e32 v103, 0xb94e, v0
	v_add_f16_e32 v94, v85, v82
	v_fmamk_f16 v80, v90, 0xb5ac, v107
	v_mul_f16_e32 v109, 0x394e, v4
	v_add_f16_e32 v43, v43, v1
	v_fma_f16 v95, v42, 0x388b, -v108
	v_fmamk_f16 v81, v94, 0xb9fd, v103
	v_add_f16_e32 v80, v68, v80
	v_fmamk_f16 v96, v88, 0xb9fd, v109
	v_mul_f16_e32 v110, 0x3770, v5
	v_add_f16_e32 v43, v95, v43
	v_sub_f16_e32 v95, v85, v82
	v_add_f16_e32 v1, v81, v44
	v_add_f16_e32 v80, v96, v80
	v_fmamk_f16 v81, v86, 0x3b15, v110
	v_mul_f16_e32 v111, 0xbbf1, v6
	v_add_f16_e32 v44, v64, v63
	v_mul_f16_e32 v112, 0xb94e, v95
	v_mul_f16_e32 v113, 0xbb7b, v91
	v_add_f16_e32 v80, v81, v80
	v_fmamk_f16 v81, v93, 0x2fb7, v111
	v_mul_f16_e32 v114, 0x33a8, v7
	v_fma_f16 v96, v44, 0xb9fd, -v112
	v_fma_f16 v115, v3, 0xb5ac, -v113
	v_mul_f16_e32 v116, 0x394e, v84
	v_add_f16_e32 v80, v81, v80
	v_fmamk_f16 v81, v83, 0xbbc4, v114
	v_add_f16_e32 v43, v96, v43
	v_add_f16_e32 v96, v15, v115
	v_fma_f16 v115, v8, 0xb9fd, -v116
	v_mul_f16_e32 v117, 0x3770, v87
	v_add_f16_e32 v80, v81, v80
	v_mul_f16_e32 v123, 0x33a8, v92
	v_fma_f16 v97, v90, 0x2fb7, -v97
	v_add_f16_e32 v81, v115, v96
	v_fma_f16 v96, v41, 0x3b15, -v117
	v_mul_f16_e32 v115, 0xbbf1, v89
	v_mul_f16_e32 v126, 0x3a95, v95
	;; [unrolled: 1-line block ×3, first 2 shown]
	v_fma_f16 v107, v90, 0xb5ac, -v107
	v_add_f16_e32 v81, v96, v81
	v_fma_f16 v96, v2, 0x2fb7, -v115
	v_add_f16_e32 v97, v68, v97
	v_fma_f16 v98, v88, 0xbbc4, -v98
	v_fma_f16 v128, v44, 0x388b, -v126
	;; [unrolled: 1-line block ×3, first 2 shown]
	v_add_f16_e32 v81, v96, v81
	v_fma_f16 v96, v42, 0xbbc4, -v123
	v_mul_f16_e32 v130, 0x3bf1, v84
	v_add_f16_e32 v107, v68, v107
	v_fma_f16 v109, v88, 0xb9fd, -v109
	v_add_f16_e32 v97, v98, v97
	v_add_f16_e32 v81, v96, v81
	v_fma_f16 v98, v86, 0xb5ac, -v99
	v_fmac_f16_e32 v102, 0x2fb7, v3
	v_mul_f16_e32 v119, 0xb94e, v11
	v_mul_f16_e32 v131, 0xba95, v87
	v_add_f16_e32 v81, v128, v81
	v_add_f16_e32 v128, v15, v129
	v_fma_f16 v129, v8, 0x2fb7, -v130
	v_add_f16_e32 v107, v109, v107
	v_fma_f16 v109, v86, 0x3b15, -v110
	;; [unrolled: 2-line block ×3, first 2 shown]
	v_add_f16_e32 v100, v15, v102
	v_fmac_f16_e32 v104, 0xbbc4, v8
	v_mul_f16_e32 v118, 0x3a95, v0
	v_fmamk_f16 v121, v90, 0xb9fd, v119
	v_mul_f16_e32 v122, 0x3bf1, v4
	v_add_f16_e32 v128, v129, v128
	v_fma_f16 v129, v41, 0x388b, -v131
	v_mul_f16_e32 v133, 0x33a8, v89
	v_fmac_f16_e32 v113, 0xb5ac, v3
	v_add_f16_e32 v107, v109, v107
	v_fma_f16 v109, v93, 0x2fb7, -v111
	v_add_f16_e32 v97, v98, v97
	v_fma_f16 v98, v83, 0x388b, -v101
	v_mul_f16_e32 v101, 0x388b, v90
	v_add_f16_e32 v100, v104, v100
	v_fmac_f16_e32 v105, 0xb5ac, v41
	v_add_f16_e32 v54, v15, v54
	v_fmamk_f16 v120, v94, 0x388b, v118
	v_add_f16_e32 v121, v68, v121
	v_fmamk_f16 v124, v88, 0x2fb7, v122
	v_mul_f16_e32 v125, 0xba95, v5
	v_add_f16_e32 v128, v129, v128
	v_fma_f16 v129, v2, 0xbbc4, -v133
	v_mul_f16_e32 v137, 0x3770, v92
	v_add_f16_e32 v113, v15, v113
	v_fmac_f16_e32 v116, 0xb9fd, v8
	v_add_f16_e32 v107, v109, v107
	v_fma_f16 v109, v83, 0xbbc4, -v114
	v_add_f16_e32 v97, v98, v97
	v_fma_f16 v98, v94, 0xb9fd, -v103
	v_fmamk_f16 v102, v11, 0x3a95, v101
	v_mul_f16_e32 v103, 0xb5ac, v88
	v_add_f16_e32 v100, v105, v100
	v_fmac_f16_e32 v106, 0x3b15, v2
	v_add_f16_e32 v54, v54, v56
	v_add_f16_e32 v55, v68, v55
	;; [unrolled: 1-line block ×4, first 2 shown]
	v_fmamk_f16 v121, v86, 0x388b, v125
	v_mul_f16_e32 v124, 0x33a8, v6
	v_add_f16_e32 v128, v129, v128
	v_fma_f16 v129, v42, 0x3b15, -v137
	v_add_f16_e32 v111, v116, v113
	v_fmac_f16_e32 v117, 0x3b15, v41
	v_add_f16_e32 v107, v109, v107
	v_fma_f16 v109, v94, 0x388b, -v118
	v_add_f16_e32 v97, v98, v97
	v_add_f16_e32 v98, v68, v102
	v_fmamk_f16 v102, v4, 0x3b7b, v103
	v_mul_f16_e32 v104, 0xbbc4, v86
	v_add_f16_e32 v100, v106, v100
	v_fmac_f16_e32 v108, 0x388b, v42
	v_mul_f16_e32 v105, 0xba95, v91
	v_add_f16_e32 v51, v54, v51
	v_add_f16_e32 v54, v55, v57
	;; [unrolled: 1-line block ×3, first 2 shown]
	v_fmamk_f16 v120, v93, 0xbbc4, v124
	v_mul_f16_e32 v121, 0x3770, v7
	v_add_f16_e32 v128, v129, v128
	v_mul_f16_e32 v129, 0xbb7b, v95
	v_mul_f16_e32 v140, 0xb3a8, v91
	v_add_f16_e32 v111, v117, v111
	v_fmac_f16_e32 v115, 0x2fb7, v2
	v_add_f16_e32 v107, v109, v107
	v_add_f16_e32 v98, v102, v98
	v_fmamk_f16 v102, v5, 0x33a8, v104
	v_mul_f16_e32 v106, 0xb9fd, v93
	v_add_f16_e32 v100, v108, v100
	v_fmamk_f16 v108, v3, 0x388b, v105
	v_mul_f16_e32 v109, 0xbb7b, v84
	v_add_f16_e32 v51, v51, v58
	v_add_f16_e32 v48, v54, v48
	;; [unrolled: 1-line block ×3, first 2 shown]
	v_fmamk_f16 v120, v83, 0x3b15, v121
	v_mul_f16_e32 v132, 0xb3a8, v11
	v_fma_f16 v142, v44, 0xb5ac, -v129
	v_fma_f16 v143, v3, 0xbbc4, -v140
	v_mul_f16_e32 v144, 0x3770, v84
	v_add_f16_e32 v99, v115, v111
	v_add_f16_e32 v98, v102, v98
	v_fmamk_f16 v102, v6, 0xb94e, v106
	v_mul_f16_e32 v111, 0x2fb7, v83
	v_add_f16_e32 v108, v15, v108
	v_fmamk_f16 v113, v8, 0xb5ac, v109
	v_mul_f16_e32 v114, 0xb3a8, v87
	v_add_f16_e32 v51, v51, v60
	v_add_f16_e32 v48, v48, v61
	;; [unrolled: 1-line block ×3, first 2 shown]
	v_mul_f16_e32 v120, 0xbb7b, v0
	v_fmamk_f16 v135, v90, 0xbbc4, v132
	v_mul_f16_e32 v136, 0x3770, v4
	v_add_f16_e32 v128, v142, v128
	v_add_f16_e32 v142, v15, v143
	v_fma_f16 v143, v8, 0x3b15, -v144
	v_mul_f16_e32 v145, 0xb94e, v87
	v_fma_f16 v132, v90, 0xbbc4, -v132
	v_fma_f16 v119, v90, 0xb9fd, -v119
	v_fmac_f16_e32 v112, 0xb9fd, v44
	v_add_f16_e32 v98, v102, v98
	v_fmamk_f16 v102, v7, 0xbbf1, v111
	v_add_f16_e32 v108, v113, v108
	v_fmamk_f16 v113, v41, 0xbbc4, v114
	v_mul_f16_e32 v115, 0x394e, v89
	v_mul_f16_e32 v90, 0x3b15, v90
	v_add_f16_e32 v51, v51, v64
	v_add_f16_e32 v48, v48, v62
	v_fmamk_f16 v134, v94, 0xb5ac, v120
	v_add_f16_e32 v135, v68, v135
	v_fmamk_f16 v138, v88, 0x3b15, v136
	v_mul_f16_e32 v139, 0xb94e, v5
	v_add_f16_e32 v142, v143, v142
	v_fma_f16 v143, v41, 0xb9fd, -v145
	v_mul_f16_e32 v146, 0x3a95, v89
	v_add_f16_e32 v132, v68, v132
	v_fma_f16 v136, v88, 0x3b15, -v136
	v_add_f16_e32 v119, v68, v119
	v_fma_f16 v122, v88, 0x2fb7, -v122
	v_add_f16_e32 v100, v112, v100
	v_add_f16_e32 v98, v102, v98
	;; [unrolled: 1-line block ×3, first 2 shown]
	v_fmamk_f16 v108, v2, 0xb9fd, v115
	v_mul_f16_e32 v112, 0x3bf1, v92
	v_fmamk_f16 v116, v11, 0x3770, v90
	v_mul_f16_e32 v88, 0x388b, v88
	v_add_f16_e32 v51, v51, v63
	v_add_f16_e32 v48, v48, v85
	;; [unrolled: 1-line block ×4, first 2 shown]
	v_fmamk_f16 v135, v86, 0xb9fd, v139
	v_mul_f16_e32 v138, 0x3a95, v6
	v_add_f16_e32 v142, v143, v142
	v_fma_f16 v143, v2, 0x388b, -v146
	v_mul_f16_e32 v148, 0xbb7b, v92
	v_add_f16_e32 v132, v136, v132
	v_fma_f16 v136, v86, 0xb9fd, -v139
	v_add_f16_e32 v119, v122, v119
	v_fma_f16 v122, v86, 0x388b, -v125
	v_add_f16_e32 v102, v108, v102
	v_fmamk_f16 v108, v42, 0x2fb7, v112
	v_mul_f16_e32 v117, 0x3770, v95
	v_add_f16_e32 v116, v68, v116
	v_fmamk_f16 v118, v4, 0x3a95, v88
	v_mul_f16_e32 v86, 0x2fb7, v86
	v_add_f16_e32 v47, v51, v47
	v_add_f16_e32 v48, v48, v82
	v_fmac_f16_e32 v101, 0xba95, v11
	v_add_f16_e32 v134, v135, v134
	v_fmamk_f16 v135, v93, 0x388b, v138
	v_add_f16_e32 v139, v143, v142
	v_fma_f16 v142, v42, 0xb5ac, -v148
	v_mul_f16_e32 v143, 0x3bf1, v95
	v_fmac_f16_e32 v140, 0xbbc4, v3
	v_add_f16_e32 v132, v136, v132
	v_fma_f16 v136, v93, 0x388b, -v138
	v_add_f16_e32 v119, v122, v119
	v_fma_f16 v122, v93, 0xbbc4, -v124
	v_add_f16_e32 v102, v108, v102
	v_fmamk_f16 v108, v44, 0x3b15, v117
	v_add_f16_e32 v116, v118, v116
	v_fmamk_f16 v118, v5, 0x3bf1, v86
	v_mul_f16_e32 v93, 0xb5ac, v93
	v_add_f16_e32 v45, v47, v45
	v_add_f16_e32 v47, v48, v59
	;; [unrolled: 1-line block ×3, first 2 shown]
	v_fmac_f16_e32 v103, 0xbb7b, v4
	v_mul_f16_e32 v141, 0xbb7b, v7
	v_add_f16_e32 v138, v142, v139
	v_fma_f16 v139, v44, 0x2fb7, -v143
	v_add_f16_e32 v140, v15, v140
	v_fmac_f16_e32 v144, 0x3b15, v8
	v_add_f16_e32 v102, v108, v102
	v_add_f16_e32 v108, v118, v116
	v_fmamk_f16 v116, v6, 0x3b7b, v93
	v_mul_f16_e32 v91, 0xb770, v91
	v_add_f16_e32 v45, v45, v50
	v_add_f16_e32 v46, v47, v46
	;; [unrolled: 1-line block ×3, first 2 shown]
	v_fmac_f16_e32 v104, 0xb3a8, v5
	v_fma_f16 v50, v3, 0x388b, -v105
	v_add_f16_e32 v134, v135, v134
	v_fmamk_f16 v135, v83, 0xb5ac, v141
	v_add_f16_e32 v132, v136, v132
	v_fma_f16 v136, v83, 0xb5ac, -v141
	v_add_f16_e32 v138, v139, v138
	v_add_f16_e32 v139, v144, v140
	v_fmac_f16_e32 v145, 0xb9fd, v41
	v_fma_f16 v121, v83, 0x3b15, -v121
	v_mul_f16_e32 v83, 0xb9fd, v83
	v_add_f16_e32 v56, v116, v108
	v_fmamk_f16 v116, v3, 0x3b15, v91
	v_mul_f16_e32 v55, 0xba95, v84
	v_add_f16_e32 v9, v46, v9
	v_add_f16_e32 v46, v104, v47
	v_fmac_f16_e32 v106, 0x394e, v6
	v_add_f16_e32 v47, v15, v50
	v_fma_f16 v50, v8, 0xb5ac, -v109
	v_add_f16_e32 v132, v136, v132
	v_add_f16_e32 v136, v145, v139
	v_fmac_f16_e32 v146, 0x388b, v2
	v_fmac_f16_e32 v127, 0xb9fd, v3
	v_fmamk_f16 v108, v7, 0x394e, v83
	v_add_f16_e32 v57, v15, v116
	v_fmamk_f16 v54, v8, 0x388b, v55
	v_mul_f16_e32 v58, 0xbbf1, v87
	v_mul_f16_e32 v84, 0xbbc4, v94
	v_fma_f16 v3, v3, 0x3b15, -v91
	v_add_f16_e32 v9, v9, v10
	v_add_f16_e32 v10, v106, v46
	;; [unrolled: 1-line block ×3, first 2 shown]
	v_fma_f16 v47, v41, 0xbbc4, -v114
	v_fmac_f16_e32 v90, 0xb770, v11
	v_add_f16_e32 v125, v146, v136
	v_fmac_f16_e32 v148, 0xb5ac, v42
	v_add_f16_e32 v127, v15, v127
	;; [unrolled: 2-line block ×3, first 2 shown]
	v_add_f16_e32 v54, v54, v57
	v_fmamk_f16 v57, v41, 0x2fb7, v58
	v_mul_f16_e32 v60, 0xbb7b, v89
	v_fmamk_f16 v61, v0, 0x33a8, v84
	v_fmac_f16_e32 v88, 0xba95, v4
	v_add_f16_e32 v3, v15, v3
	v_fma_f16 v4, v8, 0x388b, -v55
	v_add_f16_e32 v11, v47, v46
	v_fma_f16 v46, v2, 0xb9fd, -v115
	v_add_f16_e32 v47, v68, v90
	v_add_f16_e32 v124, v148, v125
	v_fmac_f16_e32 v143, 0x2fb7, v44
	v_add_f16_e32 v125, v130, v127
	v_fmac_f16_e32 v131, 0x388b, v41
	v_add_f16_e32 v54, v57, v54
	v_fmamk_f16 v57, v2, 0xb5ac, v60
	v_add_f16_e32 v56, v61, v56
	v_mul_f16_e32 v61, 0xb94e, v92
	v_add_f16_e32 v119, v122, v119
	v_add_f16_e32 v3, v4, v3
	v_fma_f16 v4, v41, 0x2fb7, -v58
	v_lshrrev_b32_e32 v15, 2, v29
	v_add_f16_e32 v8, v46, v11
	v_add_f16_e32 v11, v88, v47
	v_fmac_f16_e32 v86, 0xbbf1, v5
	v_add_f16_e32 v122, v143, v124
	v_add_f16_e32 v124, v131, v125
	v_fmac_f16_e32 v133, 0xbbc4, v2
	v_add_f16_e32 v54, v57, v54
	v_fmamk_f16 v51, v42, 0xb9fd, v61
	v_mul_f16_e32 v57, 0xb3a8, v95
	v_add_f16_e32 v119, v121, v119
	v_fma_f16 v120, v94, 0xb5ac, -v120
	v_mul_f16_e32 v113, 0x3b15, v94
	v_add_f16_e32 v3, v4, v3
	v_mul_lo_u32 v4, v15, 52
	v_fma_f16 v5, v42, 0x2fb7, -v112
	v_add_f16_e32 v11, v86, v11
	v_fmac_f16_e32 v93, 0xbb7b, v6
	v_fma_f16 v2, v2, 0xb5ac, -v60
	v_add_f16_e32 v121, v133, v124
	v_fmac_f16_e32 v137, 0x3b15, v42
	v_fmac_f16_e32 v123, 0xbbc4, v42
	v_add_f16_e32 v51, v51, v54
	v_fmamk_f16 v54, v44, 0xbbc4, v57
	v_add_f16_e32 v45, v45, v52
	v_add_f16_e32 v134, v135, v134
	v_mul_f16_e32 v135, 0x3bf1, v0
	v_add_f16_e32 v119, v120, v119
	v_fmamk_f16 v120, v0, 0xb770, v113
	v_fmac_f16_e32 v111, 0x3bf1, v7
	v_add_f16_e32 v5, v5, v8
	v_add_f16_e32 v8, v93, v11
	v_fmac_f16_e32 v83, 0xb94e, v7
	v_add_f16_e32 v2, v2, v3
	v_fma_f16 v3, v42, 0xb9fd, -v61
	v_add_f16_e32 v110, v137, v121
	v_fmac_f16_e32 v129, 0xb5ac, v44
	v_add_f16_e32 v99, v123, v99
	v_fmac_f16_e32 v126, 0x388b, v44
	v_add_f16_e32 v48, v54, v51
	v_add_f16_e32 v45, v45, v53
	;; [unrolled: 1-line block ×3, first 2 shown]
	v_or_b32_e32 v4, v4, v69
	v_fmamk_f16 v147, v94, 0x2fb7, v135
	v_fma_f16 v135, v94, 0x2fb7, -v135
	v_add_f16_e32 v98, v120, v98
	v_add_f16_e32 v10, v111, v10
	v_fmac_f16_e32 v113, 0x3770, v0
	v_fma_f16 v7, v44, 0x3b15, -v117
	v_add_f16_e32 v8, v83, v8
	v_fmac_f16_e32 v84, 0xb3a8, v0
	v_add_f16_e32 v0, v3, v2
	v_fma_f16 v2, v44, 0xbbc4, -v57
	v_add_f16_e32 v110, v129, v110
	v_add_f16_e32 v99, v126, v99
	v_lshl_add_u32 v3, v4, 2, 0
	v_pack_b32_f16 v4, v45, v9
	v_pack_b32_f16 v9, v48, v56
	v_add_f16_e32 v134, v147, v134
	v_add_f16_e32 v132, v135, v132
	;; [unrolled: 1-line block ×3, first 2 shown]
	v_pack_b32_f16 v10, v102, v98
	v_pack_b32_f16 v11, v100, v97
	v_add_f16_e32 v5, v7, v5
	v_add_f16_e32 v7, v84, v8
	v_add_f16_e32 v0, v2, v0
	ds_write2_b32 v3, v4, v9 offset1:4
	ds_write2_b32 v3, v10, v11 offset0:8 offset1:12
	v_pack_b32_f16 v2, v99, v107
	v_pack_b32_f16 v4, v110, v119
	;; [unrolled: 1-line block ×9, first 2 shown]
	ds_write2_b32 v3, v2, v4 offset0:16 offset1:20
	ds_write2_b32 v3, v8, v9 offset0:24 offset1:28
	;; [unrolled: 1-line block ×4, first 2 shown]
	ds_write_b32 v3, v0 offset:192
.LBB0_17:
	s_or_b32 exec_lo, exec_lo, s1
	v_mov_b32_e32 v6, 0x4ec5
	v_and_b32_e32 v5, 0xff, v33
	v_mov_b32_e32 v10, 2
	v_and_b32_e32 v4, 0xff, v31
	v_mov_b32_e32 v15, 0
	v_mul_u32_u24_sdwa v46, v35, v6 dst_sel:DWORD dst_unused:UNUSED_PAD src0_sel:WORD_0 src1_sel:DWORD
	v_mul_u32_u24_sdwa v61, v37, v6 dst_sel:DWORD dst_unused:UNUSED_PAD src0_sel:WORD_0 src1_sel:DWORD
	v_mul_u32_u24_sdwa v62, v18, v6 dst_sel:DWORD dst_unused:UNUSED_PAD src0_sel:WORD_0 src1_sel:DWORD
	v_mul_lo_u16 v5, 0x4f, v5
	v_mul_u32_u24_sdwa v69, v20, v6 dst_sel:DWORD dst_unused:UNUSED_PAD src0_sel:WORD_0 src1_sel:DWORD
	v_lshrrev_b32_e32 v7, 20, v46
	v_lshrrev_b32_e32 v8, 20, v61
	;; [unrolled: 1-line block ×3, first 2 shown]
	v_mul_lo_u16 v4, 0x4f, v4
	v_lshrrev_b16 v5, 12, v5
	v_mul_lo_u16 v7, v7, 52
	v_mul_lo_u16 v8, v8, 52
	;; [unrolled: 1-line block ×3, first 2 shown]
	v_lshrrev_b16 v4, 12, v4
	v_lshrrev_b32_e32 v11, 20, v69
	v_sub_nc_u16 v7, v35, v7
	v_sub_nc_u16 v8, v37, v8
	v_sub_nc_u16 v9, v18, v9
	v_mul_lo_u16 v5, v5, 52
	v_mul_lo_u16 v4, v4, 52
	v_lshlrev_b32_sdwa v63, v10, v7 dst_sel:DWORD dst_unused:UNUSED_PAD src0_sel:DWORD src1_sel:WORD_0
	v_lshlrev_b32_sdwa v64, v10, v8 dst_sel:DWORD dst_unused:UNUSED_PAD src0_sel:DWORD src1_sel:WORD_0
	;; [unrolled: 1-line block ×3, first 2 shown]
	v_mul_u32_u24_sdwa v7, v22, v6 dst_sel:DWORD dst_unused:UNUSED_PAD src0_sel:WORD_0 src1_sel:DWORD
	v_mul_u32_u24_sdwa v8, v24, v6 dst_sel:DWORD dst_unused:UNUSED_PAD src0_sel:WORD_0 src1_sel:DWORD
	;; [unrolled: 1-line block ×4, first 2 shown]
	v_mul_lo_u16 v11, v11, 52
	v_lshrrev_b32_e32 v7, 20, v7
	v_lshrrev_b32_e32 v8, 20, v8
	;; [unrolled: 1-line block ×4, first 2 shown]
	v_lshlrev_b64 v[0:1], 2, v[14:15]
	v_mul_lo_u16 v7, v7, 52
	v_mul_lo_u16 v8, v8, 52
	v_mul_lo_u16 v9, v9, 52
	v_mul_lo_u16 v6, v6, 52
	v_sub_nc_u16 v5, v33, v5
	v_sub_nc_u16 v11, v20, v11
	;; [unrolled: 1-line block ×7, first 2 shown]
	v_lshlrev_b32_sdwa v94, v10, v5 dst_sel:DWORD dst_unused:UNUSED_PAD src0_sel:DWORD src1_sel:BYTE_0
	v_add_co_u32 v2, s0, s12, v0
	v_lshlrev_b32_sdwa v84, v10, v6 dst_sel:DWORD dst_unused:UNUSED_PAD src0_sel:DWORD src1_sel:WORD_0
	v_lshlrev_b32_sdwa v80, v10, v11 dst_sel:DWORD dst_unused:UNUSED_PAD src0_sel:DWORD src1_sel:WORD_0
	;; [unrolled: 1-line block ×3, first 2 shown]
	v_lshlrev_b32_sdwa v95, v10, v4 dst_sel:DWORD dst_unused:UNUSED_PAD src0_sel:DWORD src1_sel:BYTE_0
	v_lshlrev_b32_sdwa v81, v10, v7 dst_sel:DWORD dst_unused:UNUSED_PAD src0_sel:DWORD src1_sel:WORD_0
	s_waitcnt lgkmcnt(0)
	s_barrier
	buffer_gl0_inv
	v_add_co_ci_u32_e64 v3, s0, s13, v1, s0
	v_lshlrev_b32_sdwa v82, v10, v8 dst_sel:DWORD dst_unused:UNUSED_PAD src0_sel:DWORD src1_sel:WORD_0
	s_clause 0xa
	global_load_dword v85, v63, s[12:13] offset:200
	global_load_dword v86, v64, s[12:13] offset:200
	;; [unrolled: 1-line block ×6, first 2 shown]
	global_load_dword v91, v[2:3], off offset:200
	global_load_dword v92, v84, s[12:13] offset:200
	global_load_dword v93, v83, s[12:13] offset:200
	;; [unrolled: 1-line block ×4, first 2 shown]
	v_add_nc_u32_e32 v59, 0x800, v65
	v_add_nc_u32_e32 v60, 0xc00, v65
	;; [unrolled: 1-line block ×14, first 2 shown]
	ds_read2_b32 v[4:5], v59 offset0:112 offset1:164
	ds_read2_b32 v[6:7], v57 offset0:88 offset1:140
	ds_read_b32 v19, v65
	ds_read_b32 v21, v67
	;; [unrolled: 1-line block ×12, first 2 shown]
	ds_read2_b32 v[8:9], v58 offset0:120 offset1:172
	ds_read2_b32 v[10:11], v58 offset0:16 offset1:68
	;; [unrolled: 1-line block ×4, first 2 shown]
	v_lshrrev_b32_e32 v61, 21, v61
	v_add_nc_u32_e32 v75, 0, v80
	v_add_nc_u32_e32 v76, 0, v81
	v_add_nc_u32_e32 v77, 0, v82
	v_add_nc_u32_e32 v78, 0, v83
	v_add_nc_u32_e32 v79, 0, v84
	v_lshrrev_b32_e32 v73, 21, v62
	v_mul_lo_u16 v74, 0x68, v61
	v_add_nc_u32_e32 v61, 0, v95
	v_add_nc_u32_e32 v62, 0, v94
	v_lshrrev_b32_e32 v46, 21, v46
	v_add_nc_u32_e32 v63, 0, v63
	v_add_nc_u32_e32 v64, 0, v64
	;; [unrolled: 1-line block ×4, first 2 shown]
	v_mul_lo_u16 v46, 0x68, v46
	v_add_nc_u32_e32 v62, 0x400, v62
	v_mov_b32_e32 v39, v15
	v_add_nc_u32_e32 v63, 0x400, v63
	s_waitcnt vmcnt(0) lgkmcnt(0)
	s_barrier
	buffer_gl0_inv
	v_add_nc_u32_e32 v64, 0x800, v64
	v_add_nc_u32_e32 v68, 0x800, v68
	;; [unrolled: 1-line block ×7, first 2 shown]
	v_mov_b32_e32 v41, v15
	v_lshlrev_b64 v[38:39], 2, v[38:39]
	s_add_u32 s1, s12, 0x1378
	s_addc_u32 s4, s13, 0
	s_mov_b32 s5, exec_lo
	v_lshlrev_b64 v[40:41], 2, v[40:41]
	v_add_co_u32 v38, s0, s12, v38
	v_add_co_ci_u32_e64 v39, s0, s13, v39, s0
	v_add_co_u32 v40, s0, s12, v40
	v_add_co_ci_u32_e64 v41, s0, s13, v41, s0
	v_pk_mul_f16 v100, v44, v85 op_sel:[0,1]
	v_pk_mul_f16 v99, v45, v86 op_sel:[0,1]
	;; [unrolled: 1-line block ×12, first 2 shown]
	v_pk_fma_f16 v103, v91, v5, v80 op_sel:[0,0,1] op_sel_hi:[1,1,0]
	v_pk_fma_f16 v5, v91, v5, v80 op_sel:[0,0,1] op_sel_hi:[1,0,0] neg_lo:[1,0,0] neg_hi:[1,0,0]
	v_pk_fma_f16 v80, v91, v4, v81 op_sel:[0,0,1] op_sel_hi:[1,1,0]
	v_pk_fma_f16 v4, v91, v4, v81 op_sel:[0,0,1] op_sel_hi:[1,0,0] neg_lo:[1,0,0] neg_hi:[1,0,0]
	;; [unrolled: 2-line block ×12, first 2 shown]
	v_bfi_b32 v4, 0xffff, v80, v4
	v_bfi_b32 v5, 0xffff, v103, v5
	v_bfi_b32 v6, 0xffff, v90, v6
	v_bfi_b32 v44, 0xffff, v86, v44
	v_bfi_b32 v7, 0xffff, v85, v7
	v_bfi_b32 v9, 0xffff, v81, v9
	v_bfi_b32 v8, 0xffff, v82, v8
	v_bfi_b32 v11, 0xffff, v83, v11
	v_bfi_b32 v10, 0xffff, v84, v10
	v_bfi_b32 v43, 0xffff, v89, v43
	v_bfi_b32 v42, 0xffff, v88, v42
	v_bfi_b32 v45, 0xffff, v87, v45
	v_pk_add_f16 v4, v19, v4 neg_lo:[0,1] neg_hi:[0,1]
	v_pk_add_f16 v5, v21, v5 neg_lo:[0,1] neg_hi:[0,1]
	;; [unrolled: 1-line block ×12, first 2 shown]
	v_pk_fma_f16 v19, v19, 2.0, v4 op_sel_hi:[1,0,1] neg_lo:[0,0,1] neg_hi:[0,0,1]
	v_pk_fma_f16 v21, v21, 2.0, v5 op_sel_hi:[1,0,1] neg_lo:[0,0,1] neg_hi:[0,0,1]
	;; [unrolled: 1-line block ×12, first 2 shown]
	ds_write2_b32 v65, v19, v4 offset1:52
	ds_write2_b32 v65, v21, v5 offset0:104 offset1:156
	ds_write2_b32 v61, v23, v6 offset0:80 offset1:132
	;; [unrolled: 1-line block ×11, first 2 shown]
	v_sub_nc_u16 v4, v35, v46
	v_lshrrev_b32_e32 v5, 21, v69
	v_mul_lo_u16 v6, 0x68, v73
	v_sub_nc_u16 v7, v37, v74
	s_waitcnt lgkmcnt(0)
	v_and_b32_e32 v19, 0xffff, v4
	v_mul_lo_u16 v4, 0x68, v5
	v_sub_nc_u16 v5, v18, v6
	v_and_b32_e32 v21, 0xffff, v7
	s_barrier
	v_lshlrev_b32_e32 v6, 3, v19
	v_sub_nc_u16 v4, v20, v4
	v_and_b32_e32 v23, 0xffff, v5
	v_lshlrev_b32_e32 v5, 3, v21
	buffer_gl0_inv
	s_clause 0x1
	global_load_dwordx2 v[61:62], v[38:39], off offset:408
	global_load_dwordx2 v[63:64], v[40:41], off offset:408
	v_and_b32_e32 v25, 0xffff, v4
	v_lshlrev_b32_e32 v4, 3, v23
	s_clause 0x1
	global_load_dwordx2 v[68:69], v6, s[12:13] offset:408
	global_load_dwordx2 v[70:71], v5, s[12:13] offset:408
	v_mov_b32_e32 v30, v15
	v_lshlrev_b32_e32 v5, 3, v25
	s_clause 0x1
	global_load_dwordx2 v[72:73], v4, s[12:13] offset:408
	global_load_dwordx2 v[74:75], v5, s[12:13] offset:408
	v_mov_b32_e32 v32, v15
	v_mov_b32_e32 v34, v15
	v_add_nc_u32_e32 v27, 0x600, v65
	v_add_nc_u32_e32 v78, 0xe00, v65
	v_lshlrev_b64 v[39:40], 2, v[29:30]
	v_lshlrev_b64 v[10:11], 2, v[31:32]
	;; [unrolled: 1-line block ×3, first 2 shown]
	ds_read_b32 v88, v65
	ds_read_b32 v89, v67
	ds_read2_b32 v[29:30], v60 offset0:116 offset1:168
	ds_read_b32 v90, v56
	ds_read2_b32 v[31:32], v27 offset0:84 offset1:136
	ds_read2_b32 v[33:34], v60 offset0:12 offset1:64
	ds_read_b32 v27, v55
	ds_read2_b32 v[76:77], v59 offset0:60 offset1:112
	ds_read2_b32 v[78:79], v78 offset0:92 offset1:144
	ds_read_b32 v91, v54
	ds_read2_b32 v[80:81], v59 offset0:164 offset1:216
	ds_read2_b32 v[82:83], v58 offset0:68 offset1:120
	ds_read_b32 v92, v53
	ds_read_b32 v93, v52
	;; [unrolled: 1-line block ×4, first 2 shown]
	ds_read_b32 v96, v65 offset:4784
	v_mov_b32_e32 v36, v15
	v_mov_b32_e32 v38, v15
	v_lshl_add_u32 v19, v19, 2, 0
	s_waitcnt lgkmcnt(16)
	v_lshrrev_b32_e32 v97, 16, v88
	s_waitcnt lgkmcnt(15)
	v_lshrrev_b32_e32 v98, 16, v89
	;; [unrolled: 2-line block ×3, first 2 shown]
	v_lshrrev_b32_e32 v102, 16, v30
	s_waitcnt lgkmcnt(12)
	v_lshrrev_b32_e32 v120, 16, v31
	s_waitcnt lgkmcnt(11)
	v_lshrrev_b32_e32 v118, 16, v34
	v_lshrrev_b32_e32 v101, 16, v32
	s_waitcnt lgkmcnt(9)
	v_lshrrev_b32_e32 v104, 16, v76
	s_waitcnt lgkmcnt(8)
	v_lshrrev_b32_e32 v105, 16, v78
	v_lshrrev_b32_e32 v107, 16, v77
	;; [unrolled: 1-line block ×3, first 2 shown]
	s_waitcnt lgkmcnt(6)
	v_lshrrev_b32_e32 v110, 16, v80
	s_waitcnt lgkmcnt(5)
	v_lshrrev_b32_e32 v111, 16, v82
	v_lshrrev_b32_e32 v113, 16, v81
	s_waitcnt lgkmcnt(2)
	v_lshrrev_b32_e32 v116, 16, v94
	v_lshrrev_b32_e32 v114, 16, v83
	;; [unrolled: 1-line block ×3, first 2 shown]
	s_waitcnt lgkmcnt(0)
	v_lshrrev_b32_e32 v119, 16, v96
	v_lshrrev_b32_e32 v100, 16, v90
	;; [unrolled: 1-line block ×7, first 2 shown]
	v_lshlrev_b64 v[6:7], 2, v[35:36]
	v_add_co_u32 v36, s0, s12, v39
	v_lshlrev_b64 v[4:5], 2, v[37:38]
	v_add_co_ci_u32_e64 v37, s0, s13, v40, s0
	v_add_co_u32 v41, s0, s12, v10
	v_add_co_ci_u32_e64 v42, s0, s13, v11, s0
	v_add_co_u32 v43, s0, s12, v8
	v_lshl_add_u32 v21, v21, 2, 0
	v_lshl_add_u32 v23, v23, 2, 0
	;; [unrolled: 1-line block ×3, first 2 shown]
	v_add_co_ci_u32_e64 v44, s0, s13, v9, s0
	v_add_co_u32 v45, s0, s12, v6
	v_add_nc_u32_e32 v84, 0x400, v65
	v_add_co_ci_u32_e64 v46, s0, s13, v7, s0
	v_add_nc_u32_e32 v85, 0x400, v67
	v_add_nc_u32_e32 v35, 0x800, v19
	;; [unrolled: 1-line block ×5, first 2 shown]
	s_waitcnt vmcnt(0)
	s_barrier
	buffer_gl0_inv
	v_mul_f16_sdwa v121, v61, v116 dst_sel:DWORD dst_unused:UNUSED_PAD src0_sel:WORD_1 src1_sel:DWORD
	v_mul_f16_sdwa v122, v61, v94 dst_sel:DWORD dst_unused:UNUSED_PAD src0_sel:WORD_1 src1_sel:DWORD
	;; [unrolled: 1-line block ×6, first 2 shown]
	v_mul_f16_sdwa v127, v99, v64 dst_sel:DWORD dst_unused:UNUSED_PAD src0_sel:DWORD src1_sel:WORD_1
	v_mul_f16_sdwa v128, v29, v64 dst_sel:DWORD dst_unused:UNUSED_PAD src0_sel:DWORD src1_sel:WORD_1
	;; [unrolled: 1-line block ×26, first 2 shown]
	v_fmac_f16_e32 v121, v61, v94
	v_fma_f16 v94, v61, v116, -v122
	v_fmac_f16_e32 v123, v62, v34
	v_fma_f16 v34, v62, v118, -v124
	;; [unrolled: 2-line block ×16, first 2 shown]
	v_add_f16_e32 v74, v121, v123
	v_add_f16_e32 v77, v94, v34
	v_add_f16_e32 v80, v125, v127
	v_sub_f16_e32 v81, v31, v29
	v_add_f16_e32 v82, v98, v31
	v_add_f16_e32 v31, v31, v29
	v_add_f16_e32 v96, v129, v131
	v_sub_f16_e32 v99, v32, v30
	;; [unrolled: 4-line block ×3, first 2 shown]
	v_add_f16_e32 v76, v97, v94
	v_sub_f16_e32 v78, v121, v123
	v_add_f16_e32 v79, v89, v125
	v_sub_f16_e32 v83, v125, v127
	v_add_f16_e32 v104, v27, v133
	v_add_f16_e32 v105, v133, v135
	v_sub_f16_e32 v107, v61, v62
	v_add_f16_e32 v108, v103, v61
	;; [unrolled: 3-line block ×3, first 2 shown]
	v_sub_f16_e32 v114, v63, v64
	v_add_f16_e32 v116, v106, v63
	v_add_f16_e32 v63, v63, v64
	v_add_f16_e32 v119, v141, v143
	v_sub_f16_e32 v120, v68, v69
	v_add_f16_e32 v121, v109, v68
	v_add_f16_e32 v68, v68, v69
	v_add_f16_e32 v125, v145, v147
	v_sub_f16_e32 v126, v70, v71
	v_add_f16_e32 v128, v112, v70
	v_add_f16_e32 v70, v70, v71
	v_add_f16_e32 v132, v149, v151
	v_sub_f16_e32 v133, v33, v72
	v_add_f16_e32 v134, v115, v33
	v_add_f16_e32 v33, v33, v72
	v_fmac_f16_e32 v88, -0.5, v74
	v_fmac_f16_e32 v97, -0.5, v77
	v_add_f16_e32 v94, v90, v129
	v_add_f16_e32 v111, v91, v137
	v_add_f16_e32 v124, v93, v145
	v_fmac_f16_e32 v89, -0.5, v80
	v_fmac_f16_e32 v98, -0.5, v31
	v_add_f16_e32 v118, v92, v141
	v_sub_f16_e32 v102, v129, v131
	v_add_f16_e32 v130, v95, v149
	v_fmac_f16_e32 v90, -0.5, v96
	v_fmac_f16_e32 v100, -0.5, v32
	v_sub_f16_e32 v117, v137, v139
	v_sub_f16_e32 v122, v141, v143
	;; [unrolled: 1-line block ×4, first 2 shown]
	v_add_f16_e32 v73, v73, v123
	v_add_f16_e32 v34, v76, v34
	v_fmac_f16_e32 v27, -0.5, v105
	v_fmac_f16_e32 v103, -0.5, v61
	;; [unrolled: 1-line block ×10, first 2 shown]
	v_fmamk_f16 v33, v75, 0xbaee, v88
	v_fmac_f16_e32 v88, 0x3aee, v75
	v_fmamk_f16 v75, v78, 0x3aee, v97
	v_add_f16_e32 v31, v94, v131
	v_add_f16_e32 v30, v101, v30
	;; [unrolled: 1-line block ×6, first 2 shown]
	v_fmac_f16_e32 v97, 0xbaee, v78
	v_add_f16_e32 v74, v79, v127
	v_add_f16_e32 v29, v82, v29
	;; [unrolled: 1-line block ×4, first 2 shown]
	v_fmamk_f16 v76, v81, 0xbaee, v89
	v_fmamk_f16 v77, v83, 0x3aee, v98
	v_add_f16_e32 v63, v118, v143
	v_add_f16_e32 v69, v121, v69
	v_fmac_f16_e32 v89, 0x3aee, v81
	v_fmac_f16_e32 v98, 0xbaee, v83
	v_add_f16_e32 v70, v130, v151
	v_add_f16_e32 v72, v134, v72
	v_fmamk_f16 v78, v99, 0xbaee, v90
	v_fmamk_f16 v79, v102, 0x3aee, v100
	v_fmac_f16_e32 v90, 0x3aee, v99
	v_fmac_f16_e32 v100, 0xbaee, v102
	v_fmamk_f16 v80, v107, 0xbaee, v27
	v_fmac_f16_e32 v27, 0x3aee, v107
	v_fmamk_f16 v81, v110, 0x3aee, v103
	;; [unrolled: 2-line block ×10, first 2 shown]
	v_fmac_f16_e32 v115, 0xbaee, v136
	v_pack_b32_f16 v34, v73, v34
	v_pack_b32_f16 v33, v33, v75
	v_pack_b32_f16 v30, v31, v30
	v_pack_b32_f16 v31, v32, v62
	v_pack_b32_f16 v32, v61, v64
	v_pack_b32_f16 v64, v88, v97
	v_pack_b32_f16 v29, v74, v29
	v_pack_b32_f16 v62, v68, v71
	v_pack_b32_f16 v68, v76, v77
	v_pack_b32_f16 v61, v63, v69
	v_pack_b32_f16 v69, v89, v98
	v_pack_b32_f16 v63, v70, v72
	v_pack_b32_f16 v70, v78, v79
	v_pack_b32_f16 v71, v90, v100
	v_pack_b32_f16 v72, v80, v81
	v_pack_b32_f16 v27, v27, v103
	v_pack_b32_f16 v73, v82, v83
	v_pack_b32_f16 v74, v91, v106
	v_pack_b32_f16 v75, v94, v96
	v_pack_b32_f16 v76, v92, v109
	v_pack_b32_f16 v77, v99, v101
	v_pack_b32_f16 v78, v93, v112
	v_pack_b32_f16 v79, v102, v104
	v_pack_b32_f16 v80, v95, v115
	ds_write2_b32 v65, v34, v33 offset1:104
	ds_write_b32 v65, v64 offset:832
	ds_write2_b32 v67, v29, v68 offset1:104
	ds_write_b32 v67, v69 offset:832
	ds_write2_b32 v84, v30, v70 offset0:56 offset1:160
	ds_write_b32 v65, v71 offset:2080
	ds_write2_b32 v85, v31, v72 offset0:56 offset1:160
	;; [unrolled: 2-line block ×6, first 2 shown]
	ds_write_b32 v25, v80 offset:4576
	v_add_co_u32 v61, s0, s12, v4
	s_waitcnt lgkmcnt(0)
	s_barrier
	buffer_gl0_inv
	s_clause 0x2
	global_load_dword v38, v[2:3], off offset:1240
	global_load_dword v78, v[36:37], off offset:1240
	;; [unrolled: 1-line block ×3, first 2 shown]
	v_add_co_ci_u32_e64 v62, s0, s13, v5, s0
	s_clause 0x2
	global_load_dword v80, v[43:44], off offset:1240
	global_load_dword v81, v[45:46], off offset:1240
	;; [unrolled: 1-line block ×3, first 2 shown]
	v_mov_b32_e32 v19, v15
	v_mov_b32_e32 v21, v15
	;; [unrolled: 1-line block ×3, first 2 shown]
	v_add_co_u32 v2, s0, 0x800, v2
	v_lshlrev_b64 v[34:35], 2, v[18:19]
	v_lshlrev_b64 v[32:33], 2, v[20:21]
	v_mov_b32_e32 v25, v15
	v_add_co_ci_u32_e64 v3, s0, 0, v3, s0
	v_mov_b32_e32 v27, v15
	v_mov_b32_e32 v29, v15
	v_lshlrev_b64 v[30:31], 2, v[22:23]
	v_add_co_u32 v15, s0, s12, v34
	v_add_co_ci_u32_e64 v63, s0, s13, v35, s0
	v_lshlrev_b64 v[22:23], 2, v[24:25]
	v_add_co_u32 v64, s0, s12, v32
	v_add_co_ci_u32_e64 v68, s0, s13, v33, s0
	;; [unrolled: 3-line block ×4, first 2 shown]
	v_add_co_u32 v85, s0, s12, v20
	v_add_co_ci_u32_e64 v86, s0, s13, v21, s0
	v_add_co_u32 v87, s0, s12, v18
	v_add_co_ci_u32_e64 v88, s0, s13, v19, s0
	;; [unrolled: 2-line block ×10, first 2 shown]
	ds_read2_b32 v[63:64], v59 offset0:112 offset1:164
	ds_read_b32 v15, v65
	ds_read_b32 v89, v67
	;; [unrolled: 1-line block ×4, first 2 shown]
	ds_read2_b32 v[68:69], v57 offset0:88 offset1:140
	ds_read_b32 v92, v54
	ds_read2_b32 v[70:71], v60 offset0:64 offset1:116
	ds_read_b32 v93, v53
	;; [unrolled: 2-line block ×3, first 2 shown]
	ds_read_b32 v95, v51
	ds_read2_b32 v[74:75], v58 offset0:16 offset1:68
	ds_read2_b32 v[76:77], v58 offset0:120 offset1:172
	ds_read_b32 v96, v50
	ds_read_b32 v97, v49
	;; [unrolled: 1-line block ×4, first 2 shown]
	s_waitcnt vmcnt(0) lgkmcnt(0)
	s_barrier
	v_lshrrev_b32_e32 v119, 16, v63
	v_lshrrev_b32_e32 v121, 16, v64
	;; [unrolled: 1-line block ×24, first 2 shown]
	buffer_gl0_inv
	v_mul_f16_sdwa v124, v38, v119 dst_sel:DWORD dst_unused:UNUSED_PAD src0_sel:WORD_1 src1_sel:DWORD
	v_mul_f16_sdwa v125, v38, v63 dst_sel:DWORD dst_unused:UNUSED_PAD src0_sel:WORD_1 src1_sel:DWORD
	;; [unrolled: 1-line block ×6, first 2 shown]
	v_mul_f16_sdwa v130, v104, v80 dst_sel:DWORD dst_unused:UNUSED_PAD src0_sel:DWORD src1_sel:WORD_1
	v_mul_f16_sdwa v131, v69, v80 dst_sel:DWORD dst_unused:UNUSED_PAD src0_sel:DWORD src1_sel:WORD_1
	;; [unrolled: 1-line block ×18, first 2 shown]
	v_fmac_f16_e32 v124, v38, v63
	v_fma_f16 v63, v38, v119, -v125
	v_fmac_f16_e32 v126, v78, v64
	v_fma_f16 v64, v78, v121, -v127
	;; [unrolled: 2-line block ×12, first 2 shown]
	v_sub_f16_e32 v77, v15, v124
	v_sub_f16_e32 v63, v100, v63
	;; [unrolled: 1-line block ×24, first 2 shown]
	v_fma_f16 v15, v15, 2.0, -v77
	v_fma_f16 v100, v100, 2.0, -v63
	;; [unrolled: 1-line block ×4, first 2 shown]
	v_pack_b32_f16 v63, v77, v63
	v_fma_f16 v90, v90, 2.0, -v79
	v_fma_f16 v102, v102, 2.0, -v68
	;; [unrolled: 1-line block ×20, first 2 shown]
	v_pack_b32_f16 v15, v15, v100
	ds_write_b32 v65, v63 offset:1248
	v_pack_b32_f16 v63, v89, v101
	v_pack_b32_f16 v64, v78, v64
	;; [unrolled: 1-line block ×22, first 2 shown]
	ds_write_b32 v65, v15
	ds_write_b32 v67, v63
	ds_write_b32 v67, v64 offset:1248
	ds_write_b32 v56, v77
	ds_write_b32 v56, v68 offset:1248
	;; [unrolled: 2-line block ×5, first 2 shown]
	ds_write_b32 v65, v81 offset:2496
	ds_write_b32 v65, v38 offset:3744
	;; [unrolled: 1-line block ×12, first 2 shown]
	s_waitcnt lgkmcnt(0)
	s_barrier
	buffer_gl0_inv
	global_load_dword v15, v[2:3], off offset:440
	v_add_co_u32 v2, s0, 0x800, v83
	v_add_co_ci_u32_e64 v3, s0, 0, v84, s0
	s_clause 0x3
	global_load_dword v38, v[24:25], off offset:440
	global_load_dword v63, v[26:27], off offset:440
	;; [unrolled: 1-line block ×4, first 2 shown]
	v_add_co_u32 v24, s0, 0x800, v85
	v_add_co_ci_u32_e64 v25, s0, 0, v86, s0
	v_add_co_u32 v26, s0, 0x800, v87
	v_add_co_ci_u32_e64 v27, s0, 0, v88, s0
	s_clause 0x6
	global_load_dword v69, v[41:42], off offset:440
	global_load_dword v43, v[43:44], off offset:440
	;; [unrolled: 1-line block ×7, first 2 shown]
	ds_read2_b32 v[2:3], v59 offset0:112 offset1:164
	ds_read_b32 v59, v65
	ds_read_b32 v70, v67
	;; [unrolled: 1-line block ×4, first 2 shown]
	ds_read2_b32 v[24:25], v57 offset0:88 offset1:140
	ds_read_b32 v57, v54
	ds_read2_b32 v[26:27], v60 offset0:64 offset1:116
	ds_read_b32 v73, v53
	;; [unrolled: 2-line block ×3, first 2 shown]
	ds_read_b32 v74, v51
	ds_read2_b32 v[36:37], v58 offset0:16 offset1:68
	ds_read2_b32 v[41:42], v58 offset0:120 offset1:172
	ds_read_b32 v58, v50
	ds_read_b32 v75, v49
	;; [unrolled: 1-line block ×4, first 2 shown]
	s_waitcnt vmcnt(0) lgkmcnt(0)
	s_barrier
	v_lshrrev_b32_e32 v97, 16, v2
	v_lshrrev_b32_e32 v99, 16, v3
	;; [unrolled: 1-line block ×24, first 2 shown]
	buffer_gl0_inv
	v_mul_f16_sdwa v102, v15, v97 dst_sel:DWORD dst_unused:UNUSED_PAD src0_sel:WORD_1 src1_sel:DWORD
	v_mul_f16_sdwa v103, v15, v2 dst_sel:DWORD dst_unused:UNUSED_PAD src0_sel:WORD_1 src1_sel:DWORD
	;; [unrolled: 1-line block ×6, first 2 shown]
	v_mul_f16_sdwa v108, v82, v64 dst_sel:DWORD dst_unused:UNUSED_PAD src0_sel:DWORD src1_sel:WORD_1
	v_mul_f16_sdwa v109, v25, v64 dst_sel:DWORD dst_unused:UNUSED_PAD src0_sel:DWORD src1_sel:WORD_1
	v_mul_f16_sdwa v110, v84, v68 dst_sel:DWORD dst_unused:UNUSED_PAD src0_sel:DWORD src1_sel:WORD_1
	v_mul_f16_sdwa v111, v26, v68 dst_sel:DWORD dst_unused:UNUSED_PAD src0_sel:DWORD src1_sel:WORD_1
	v_fmac_f16_e32 v102, v15, v2
	v_mul_f16_sdwa v112, v86, v69 dst_sel:DWORD dst_unused:UNUSED_PAD src0_sel:DWORD src1_sel:WORD_1
	v_mul_f16_sdwa v113, v27, v69 dst_sel:DWORD dst_unused:UNUSED_PAD src0_sel:DWORD src1_sel:WORD_1
	;; [unrolled: 1-line block ×14, first 2 shown]
	v_fma_f16 v2, v15, v97, -v103
	v_fmac_f16_e32 v104, v38, v3
	v_fma_f16 v3, v38, v99, -v105
	v_fmac_f16_e32 v106, v63, v24
	;; [unrolled: 2-line block ×11, first 2 shown]
	v_fma_f16 v38, v100, v62, -v125
	v_sub_f16_e32 v41, v59, v102
	v_sub_f16_e32 v2, v78, v2
	;; [unrolled: 1-line block ×24, first 2 shown]
	v_fma_f16 v59, v59, 2.0, -v41
	v_fma_f16 v78, v78, 2.0, -v2
	;; [unrolled: 1-line block ×4, first 2 shown]
	v_pack_b32_f16 v2, v41, v2
	v_fma_f16 v71, v71, 2.0, -v43
	v_fma_f16 v80, v80, 2.0, -v15
	;; [unrolled: 1-line block ×20, first 2 shown]
	v_pack_b32_f16 v41, v59, v78
	ds_write_b32 v65, v2 offset:2496
	v_pack_b32_f16 v2, v70, v79
	v_pack_b32_f16 v3, v42, v3
	;; [unrolled: 1-line block ×22, first 2 shown]
	ds_write_b32 v65, v41
	ds_write_b32 v67, v2
	ds_write_b32 v67, v3 offset:2496
	ds_write_b32 v56, v42
	ds_write_b32 v56, v15 offset:2496
	;; [unrolled: 2-line block ×11, first 2 shown]
	s_waitcnt lgkmcnt(0)
	s_barrier
	buffer_gl0_inv
	ds_read_b32 v25, v65
	v_sub_nc_u32_e32 v2, 0, v66
                                        ; implicit-def: $vgpr24
                                        ; implicit-def: $vgpr15
                                        ; implicit-def: $vgpr3
	v_cmpx_ne_u32_e32 0, v14
	s_xor_b32 s5, exec_lo, s5
	s_cbranch_execz .LBB0_19
; %bb.18:
	v_add_co_u32 v0, s0, s1, v0
	v_add_co_ci_u32_e64 v1, s0, s4, v1, s0
	global_load_dword v0, v[0:1], off
	ds_read_b32 v1, v2 offset:4992
	s_waitcnt lgkmcnt(0)
	v_sub_f16_e32 v3, v25, v1
	v_add_f16_sdwa v15, v1, v25 dst_sel:DWORD dst_unused:UNUSED_PAD src0_sel:WORD_1 src1_sel:WORD_1
	v_sub_f16_sdwa v24, v25, v1 dst_sel:DWORD dst_unused:UNUSED_PAD src0_sel:WORD_1 src1_sel:WORD_1
	v_add_f16_e32 v1, v1, v25
	v_mul_f16_e32 v26, 0.5, v3
	v_mul_f16_e32 v15, 0.5, v15
	;; [unrolled: 1-line block ×3, first 2 shown]
	s_waitcnt vmcnt(0)
	v_lshrrev_b32_e32 v3, 16, v0
	v_mul_f16_e32 v25, v3, v26
	v_fma_f16 v27, v15, v3, v24
	v_fma_f16 v24, v15, v3, -v24
	v_fma_f16 v28, 0.5, v1, v25
	v_fma_f16 v1, v1, 0.5, -v25
	v_fma_f16 v3, -v0, v26, v27
	v_fma_f16 v24, -v0, v26, v24
                                        ; implicit-def: $vgpr25
	v_fmac_f16_e32 v28, v0, v15
	v_fma_f16 v15, -v0, v15, v1
	ds_write_b16 v65, v28
.LBB0_19:
	s_andn2_saveexec_b32 s0, s5
	s_cbranch_execz .LBB0_21
; %bb.20:
	v_mov_b32_e32 v3, 0
	s_waitcnt lgkmcnt(0)
	v_add_f16_sdwa v1, v25, v25 dst_sel:DWORD dst_unused:UNUSED_PAD src0_sel:WORD_1 src1_sel:DWORD
	v_sub_f16_sdwa v15, v25, v25 dst_sel:DWORD dst_unused:UNUSED_PAD src0_sel:DWORD src1_sel:WORD_1
	v_mov_b32_e32 v24, 0
	ds_read_u16 v0, v3 offset:2498
	s_waitcnt lgkmcnt(0)
	v_xor_b32_e32 v0, 0x8000, v0
	ds_write_b16 v65, v1
	ds_write_b16 v3, v0 offset:2498
.LBB0_21:
	s_or_b32 exec_lo, exec_lo, s0
	v_add_co_u32 v0, s0, s1, v39
	v_add_co_ci_u32_e64 v1, s0, s4, v40, s0
	s_waitcnt lgkmcnt(0)
	global_load_dword v25, v[0:1], off
	v_add_co_u32 v0, s0, s1, v10
	v_add_co_ci_u32_e64 v1, s0, s4, v11, s0
	global_load_dword v10, v[0:1], off
	v_add_co_u32 v0, s0, s1, v8
	v_add_co_ci_u32_e64 v1, s0, s4, v9, s0
	;; [unrolled: 3-line block ×4, first 2 shown]
	global_load_dword v5, v[0:1], off
	v_perm_b32 v0, v24, v15, 0x5040100
	ds_write_b16 v65, v3 offset:2
	ds_write_b32 v2, v0 offset:4992
	v_add_co_u32 v0, s0, s1, v34
	ds_read_b32 v3, v67
	ds_read_b32 v4, v2 offset:4784
	v_add_co_ci_u32_e64 v1, s0, s4, v35, s0
	global_load_dword v7, v[0:1], off
	v_add_co_u32 v0, s0, s1, v32
	v_add_co_ci_u32_e64 v1, s0, s4, v33, s0
	s_waitcnt lgkmcnt(0)
	v_pk_add_f16 v9, v3, v4 neg_lo:[0,1] neg_hi:[0,1]
	v_pk_add_f16 v3, v3, v4
	v_bfi_b32 v11, 0xffff, v9, v3
	v_bfi_b32 v9, 0xffff, v3, v9
	v_add_co_u32 v3, s0, s1, v30
	v_add_co_ci_u32_e64 v4, s0, s4, v31, s0
	v_pk_mul_f16 v11, v11, 0.5 op_sel_hi:[1,0]
	v_pk_mul_f16 v9, v9, 0.5 op_sel_hi:[1,0]
	s_clause 0x1
	global_load_dword v15, v[0:1], off
	global_load_dword v3, v[3:4], off
	s_waitcnt vmcnt(7)
	v_pk_fma_f16 v0, v25, v11, v9 op_sel:[1,0,0]
	v_pk_mul_f16 v1, v25, v11 op_sel_hi:[0,1]
	v_pk_fma_f16 v4, v25, v11, v9 op_sel:[1,0,0] neg_lo:[1,0,0] neg_hi:[1,0,0]
	v_pk_fma_f16 v9, v25, v11, v9 op_sel:[1,0,0] neg_lo:[0,0,1] neg_hi:[0,0,1]
	v_pk_add_f16 v11, v0, v1 op_sel:[0,1] op_sel_hi:[1,0]
	v_pk_add_f16 v0, v0, v1 op_sel:[0,1] op_sel_hi:[1,0] neg_lo:[0,1] neg_hi:[0,1]
	v_pk_add_f16 v4, v4, v1 op_sel:[0,1] op_sel_hi:[1,0] neg_lo:[0,1] neg_hi:[0,1]
	;; [unrolled: 1-line block ×3, first 2 shown]
	v_bfi_b32 v0, 0xffff, v11, v0
	v_bfi_b32 v1, 0xffff, v4, v1
	ds_write_b32 v67, v0
	ds_write_b32 v2, v1 offset:4784
	ds_read_b32 v0, v56
	ds_read_b32 v1, v2 offset:4576
	s_waitcnt lgkmcnt(0)
	v_pk_add_f16 v4, v0, v1 neg_lo:[0,1] neg_hi:[0,1]
	v_pk_add_f16 v0, v0, v1
	v_bfi_b32 v1, 0xffff, v4, v0
	v_bfi_b32 v0, 0xffff, v0, v4
	v_pk_mul_f16 v1, v1, 0.5 op_sel_hi:[1,0]
	v_pk_mul_f16 v0, v0, 0.5 op_sel_hi:[1,0]
	s_waitcnt vmcnt(6)
	v_pk_mul_f16 v9, v10, v1 op_sel_hi:[0,1]
	v_pk_fma_f16 v4, v10, v1, v0 op_sel:[1,0,0]
	v_pk_fma_f16 v11, v10, v1, v0 op_sel:[1,0,0] neg_lo:[1,0,0] neg_hi:[1,0,0]
	v_pk_fma_f16 v0, v10, v1, v0 op_sel:[1,0,0] neg_lo:[0,0,1] neg_hi:[0,0,1]
	v_pk_add_f16 v1, v4, v9 op_sel:[0,1] op_sel_hi:[1,0]
	v_pk_add_f16 v4, v4, v9 op_sel:[0,1] op_sel_hi:[1,0] neg_lo:[0,1] neg_hi:[0,1]
	v_pk_add_f16 v10, v11, v9 op_sel:[0,1] op_sel_hi:[1,0] neg_lo:[0,1] neg_hi:[0,1]
	;; [unrolled: 1-line block ×3, first 2 shown]
	v_bfi_b32 v1, 0xffff, v1, v4
	v_bfi_b32 v0, 0xffff, v10, v0
	ds_write_b32 v56, v1
	ds_write_b32 v2, v0 offset:4576
	ds_read_b32 v0, v55
	ds_read_b32 v1, v2 offset:4368
	s_waitcnt lgkmcnt(0)
	v_pk_add_f16 v4, v0, v1 neg_lo:[0,1] neg_hi:[0,1]
	v_pk_add_f16 v0, v0, v1
	v_bfi_b32 v1, 0xffff, v4, v0
	v_bfi_b32 v0, 0xffff, v0, v4
	v_pk_mul_f16 v1, v1, 0.5 op_sel_hi:[1,0]
	v_pk_mul_f16 v0, v0, 0.5 op_sel_hi:[1,0]
	s_waitcnt vmcnt(5)
	v_pk_mul_f16 v9, v8, v1 op_sel_hi:[0,1]
	v_pk_fma_f16 v4, v8, v1, v0 op_sel:[1,0,0]
	v_pk_fma_f16 v10, v8, v1, v0 op_sel:[1,0,0] neg_lo:[1,0,0] neg_hi:[1,0,0]
	v_pk_fma_f16 v0, v8, v1, v0 op_sel:[1,0,0] neg_lo:[0,0,1] neg_hi:[0,0,1]
	v_pk_add_f16 v1, v4, v9 op_sel:[0,1] op_sel_hi:[1,0]
	v_pk_add_f16 v4, v4, v9 op_sel:[0,1] op_sel_hi:[1,0] neg_lo:[0,1] neg_hi:[0,1]
	v_pk_add_f16 v8, v10, v9 op_sel:[0,1] op_sel_hi:[1,0] neg_lo:[0,1] neg_hi:[0,1]
	;; [unrolled: 1-line block ×3, first 2 shown]
	v_bfi_b32 v1, 0xffff, v1, v4
	v_bfi_b32 v0, 0xffff, v8, v0
	ds_write_b32 v55, v1
	ds_write_b32 v2, v0 offset:4368
	v_add_co_u32 v0, s0, s1, v22
	ds_read_b32 v4, v54
	ds_read_b32 v8, v2 offset:4160
	v_add_co_ci_u32_e64 v1, s0, s4, v23, s0
	global_load_dword v9, v[0:1], off
	s_waitcnt lgkmcnt(0)
	v_pk_add_f16 v0, v4, v8 neg_lo:[0,1] neg_hi:[0,1]
	v_pk_add_f16 v1, v4, v8
	v_bfi_b32 v4, 0xffff, v0, v1
	v_bfi_b32 v0, 0xffff, v1, v0
	v_pk_mul_f16 v1, v4, 0.5 op_sel_hi:[1,0]
	v_pk_mul_f16 v0, v0, 0.5 op_sel_hi:[1,0]
	s_waitcnt vmcnt(5)
	v_pk_mul_f16 v8, v6, v1 op_sel_hi:[0,1]
	v_pk_fma_f16 v4, v6, v1, v0 op_sel:[1,0,0]
	v_pk_fma_f16 v10, v6, v1, v0 op_sel:[1,0,0] neg_lo:[1,0,0] neg_hi:[1,0,0]
	v_pk_fma_f16 v0, v6, v1, v0 op_sel:[1,0,0] neg_lo:[0,0,1] neg_hi:[0,0,1]
	v_pk_add_f16 v1, v4, v8 op_sel:[0,1] op_sel_hi:[1,0]
	v_pk_add_f16 v4, v4, v8 op_sel:[0,1] op_sel_hi:[1,0] neg_lo:[0,1] neg_hi:[0,1]
	v_pk_add_f16 v6, v10, v8 op_sel:[0,1] op_sel_hi:[1,0] neg_lo:[0,1] neg_hi:[0,1]
	;; [unrolled: 1-line block ×3, first 2 shown]
	v_bfi_b32 v1, 0xffff, v1, v4
	v_bfi_b32 v0, 0xffff, v6, v0
	ds_write_b32 v54, v1
	ds_write_b32 v2, v0 offset:4160
	v_add_co_u32 v0, s0, s1, v20
	ds_read_b32 v4, v53
	ds_read_b32 v6, v2 offset:3952
	v_add_co_ci_u32_e64 v1, s0, s4, v21, s0
	global_load_dword v8, v[0:1], off
	s_waitcnt lgkmcnt(0)
	v_pk_add_f16 v0, v4, v6 neg_lo:[0,1] neg_hi:[0,1]
	v_pk_add_f16 v1, v4, v6
	v_bfi_b32 v4, 0xffff, v0, v1
	v_bfi_b32 v0, 0xffff, v1, v0
	v_pk_mul_f16 v1, v4, 0.5 op_sel_hi:[1,0]
	v_pk_mul_f16 v0, v0, 0.5 op_sel_hi:[1,0]
	s_waitcnt vmcnt(5)
	v_pk_mul_f16 v6, v5, v1 op_sel_hi:[0,1]
	v_pk_fma_f16 v4, v5, v1, v0 op_sel:[1,0,0]
	v_pk_fma_f16 v10, v5, v1, v0 op_sel:[1,0,0] neg_lo:[1,0,0] neg_hi:[1,0,0]
	v_pk_fma_f16 v0, v5, v1, v0 op_sel:[1,0,0] neg_lo:[0,0,1] neg_hi:[0,0,1]
	v_pk_add_f16 v1, v4, v6 op_sel:[0,1] op_sel_hi:[1,0]
	v_pk_add_f16 v4, v4, v6 op_sel:[0,1] op_sel_hi:[1,0] neg_lo:[0,1] neg_hi:[0,1]
	v_pk_add_f16 v5, v10, v6 op_sel:[0,1] op_sel_hi:[1,0] neg_lo:[0,1] neg_hi:[0,1]
	;; [unrolled: 1-line block ×3, first 2 shown]
	v_bfi_b32 v1, 0xffff, v1, v4
	v_bfi_b32 v0, 0xffff, v5, v0
	ds_write_b32 v53, v1
	ds_write_b32 v2, v0 offset:3952
	v_add_co_u32 v0, s0, s1, v18
	v_add_co_ci_u32_e64 v1, s0, s4, v19, s0
	ds_read_b32 v4, v52
	ds_read_b32 v5, v2 offset:3744
	global_load_dword v0, v[0:1], off
	s_waitcnt lgkmcnt(0)
	v_pk_add_f16 v1, v4, v5 neg_lo:[0,1] neg_hi:[0,1]
	v_pk_add_f16 v4, v4, v5
	v_bfi_b32 v5, 0xffff, v1, v4
	v_bfi_b32 v1, 0xffff, v4, v1
	v_pk_mul_f16 v4, v5, 0.5 op_sel_hi:[1,0]
	v_pk_mul_f16 v1, v1, 0.5 op_sel_hi:[1,0]
	s_waitcnt vmcnt(5)
	v_pk_mul_f16 v6, v7, v4 op_sel_hi:[0,1]
	v_pk_fma_f16 v5, v7, v4, v1 op_sel:[1,0,0]
	v_pk_fma_f16 v10, v7, v4, v1 op_sel:[1,0,0] neg_lo:[1,0,0] neg_hi:[1,0,0]
	v_pk_fma_f16 v1, v7, v4, v1 op_sel:[1,0,0] neg_lo:[0,0,1] neg_hi:[0,0,1]
	v_pk_add_f16 v4, v5, v6 op_sel:[0,1] op_sel_hi:[1,0]
	v_pk_add_f16 v5, v5, v6 op_sel:[0,1] op_sel_hi:[1,0] neg_lo:[0,1] neg_hi:[0,1]
	v_pk_add_f16 v7, v10, v6 op_sel:[0,1] op_sel_hi:[1,0] neg_lo:[0,1] neg_hi:[0,1]
	v_pk_add_f16 v1, v1, v6 op_sel:[0,1] op_sel_hi:[1,0] neg_lo:[0,1] neg_hi:[0,1]
	v_bfi_b32 v4, 0xffff, v4, v5
	v_bfi_b32 v1, 0xffff, v7, v1
	ds_write_b32 v52, v4
	ds_write_b32 v2, v1 offset:3744
	ds_read_b32 v1, v51
	ds_read_b32 v4, v2 offset:3536
	s_waitcnt lgkmcnt(0)
	v_pk_add_f16 v5, v1, v4 neg_lo:[0,1] neg_hi:[0,1]
	v_pk_add_f16 v1, v1, v4
	v_bfi_b32 v4, 0xffff, v5, v1
	v_bfi_b32 v1, 0xffff, v1, v5
	v_pk_mul_f16 v4, v4, 0.5 op_sel_hi:[1,0]
	v_pk_mul_f16 v1, v1, 0.5 op_sel_hi:[1,0]
	s_waitcnt vmcnt(4)
	v_pk_mul_f16 v6, v15, v4 op_sel_hi:[0,1]
	v_pk_fma_f16 v5, v15, v4, v1 op_sel:[1,0,0]
	v_pk_fma_f16 v7, v15, v4, v1 op_sel:[1,0,0] neg_lo:[1,0,0] neg_hi:[1,0,0]
	v_pk_fma_f16 v1, v15, v4, v1 op_sel:[1,0,0] neg_lo:[0,0,1] neg_hi:[0,0,1]
	v_pk_add_f16 v4, v5, v6 op_sel:[0,1] op_sel_hi:[1,0]
	v_pk_add_f16 v5, v5, v6 op_sel:[0,1] op_sel_hi:[1,0] neg_lo:[0,1] neg_hi:[0,1]
	v_pk_add_f16 v7, v7, v6 op_sel:[0,1] op_sel_hi:[1,0] neg_lo:[0,1] neg_hi:[0,1]
	v_pk_add_f16 v1, v1, v6 op_sel:[0,1] op_sel_hi:[1,0] neg_lo:[0,1] neg_hi:[0,1]
	v_bfi_b32 v4, 0xffff, v4, v5
	v_bfi_b32 v1, 0xffff, v7, v1
	ds_write_b32 v51, v4
	ds_write_b32 v2, v1 offset:3536
	ds_read_b32 v1, v50
	ds_read_b32 v4, v2 offset:3328
	;; [unrolled: 22-line block ×3, first 2 shown]
	s_waitcnt lgkmcnt(0)
	v_pk_add_f16 v4, v1, v3 neg_lo:[0,1] neg_hi:[0,1]
	v_pk_add_f16 v1, v1, v3
	v_bfi_b32 v3, 0xffff, v4, v1
	v_bfi_b32 v1, 0xffff, v1, v4
	v_pk_mul_f16 v3, v3, 0.5 op_sel_hi:[1,0]
	v_pk_mul_f16 v1, v1, 0.5 op_sel_hi:[1,0]
	s_waitcnt vmcnt(2)
	v_pk_fma_f16 v4, v9, v3, v1 op_sel:[1,0,0]
	v_pk_mul_f16 v5, v9, v3 op_sel_hi:[0,1]
	v_pk_fma_f16 v6, v9, v3, v1 op_sel:[1,0,0] neg_lo:[1,0,0] neg_hi:[1,0,0]
	v_pk_fma_f16 v1, v9, v3, v1 op_sel:[1,0,0] neg_lo:[0,0,1] neg_hi:[0,0,1]
	v_pk_add_f16 v3, v4, v5 op_sel:[0,1] op_sel_hi:[1,0]
	v_pk_add_f16 v4, v4, v5 op_sel:[0,1] op_sel_hi:[1,0] neg_lo:[0,1] neg_hi:[0,1]
	v_pk_add_f16 v6, v6, v5 op_sel:[0,1] op_sel_hi:[1,0] neg_lo:[0,1] neg_hi:[0,1]
	;; [unrolled: 1-line block ×3, first 2 shown]
	v_bfi_b32 v3, 0xffff, v3, v4
	v_bfi_b32 v1, 0xffff, v6, v1
	ds_write_b32 v49, v3
	ds_write_b32 v2, v1 offset:3120
	ds_read_b32 v1, v48
	ds_read_b32 v3, v2 offset:2912
	s_waitcnt lgkmcnt(0)
	v_pk_add_f16 v4, v1, v3 neg_lo:[0,1] neg_hi:[0,1]
	v_pk_add_f16 v1, v1, v3
	v_bfi_b32 v3, 0xffff, v4, v1
	v_bfi_b32 v1, 0xffff, v1, v4
	v_pk_mul_f16 v3, v3, 0.5 op_sel_hi:[1,0]
	v_pk_mul_f16 v1, v1, 0.5 op_sel_hi:[1,0]
	s_waitcnt vmcnt(1)
	v_pk_fma_f16 v4, v8, v3, v1 op_sel:[1,0,0]
	v_pk_mul_f16 v5, v8, v3 op_sel_hi:[0,1]
	v_pk_fma_f16 v6, v8, v3, v1 op_sel:[1,0,0] neg_lo:[1,0,0] neg_hi:[1,0,0]
	v_pk_fma_f16 v1, v8, v3, v1 op_sel:[1,0,0] neg_lo:[0,0,1] neg_hi:[0,0,1]
	v_pk_add_f16 v3, v4, v5 op_sel:[0,1] op_sel_hi:[1,0]
	v_pk_add_f16 v4, v4, v5 op_sel:[0,1] op_sel_hi:[1,0] neg_lo:[0,1] neg_hi:[0,1]
	v_pk_add_f16 v6, v6, v5 op_sel:[0,1] op_sel_hi:[1,0] neg_lo:[0,1] neg_hi:[0,1]
	;; [unrolled: 1-line block ×3, first 2 shown]
	v_bfi_b32 v3, 0xffff, v3, v4
	v_bfi_b32 v1, 0xffff, v6, v1
	ds_write_b32 v48, v3
	ds_write_b32 v2, v1 offset:2912
	ds_read_b32 v1, v47
	ds_read_b32 v3, v2 offset:2704
	s_waitcnt lgkmcnt(0)
	v_pk_add_f16 v4, v1, v3 neg_lo:[0,1] neg_hi:[0,1]
	v_pk_add_f16 v1, v1, v3
	v_bfi_b32 v3, 0xffff, v4, v1
	v_bfi_b32 v1, 0xffff, v1, v4
	v_pk_mul_f16 v3, v3, 0.5 op_sel_hi:[1,0]
	v_pk_mul_f16 v1, v1, 0.5 op_sel_hi:[1,0]
	s_waitcnt vmcnt(0)
	v_pk_fma_f16 v4, v0, v3, v1 op_sel:[1,0,0]
	v_pk_mul_f16 v5, v0, v3 op_sel_hi:[0,1]
	v_pk_fma_f16 v6, v0, v3, v1 op_sel:[1,0,0] neg_lo:[1,0,0] neg_hi:[1,0,0]
	v_pk_fma_f16 v0, v0, v3, v1 op_sel:[1,0,0] neg_lo:[0,0,1] neg_hi:[0,0,1]
	v_pk_add_f16 v1, v4, v5 op_sel:[0,1] op_sel_hi:[1,0]
	v_pk_add_f16 v3, v4, v5 op_sel:[0,1] op_sel_hi:[1,0] neg_lo:[0,1] neg_hi:[0,1]
	v_pk_add_f16 v4, v6, v5 op_sel:[0,1] op_sel_hi:[1,0] neg_lo:[0,1] neg_hi:[0,1]
	;; [unrolled: 1-line block ×3, first 2 shown]
	v_bfi_b32 v1, 0xffff, v1, v3
	v_bfi_b32 v0, 0xffff, v4, v0
	ds_write_b32 v47, v1
	ds_write_b32 v2, v0 offset:2704
	s_waitcnt lgkmcnt(0)
	s_barrier
	buffer_gl0_inv
	s_and_saveexec_b32 s0, vcc_lo
	s_cbranch_execz .LBB0_24
; %bb.22:
	v_mul_lo_u32 v2, s3, v16
	v_mul_lo_u32 v3, s2, v17
	v_mad_u64_u32 v[0:1], null, s2, v16, 0
	v_lshl_add_u32 v20, v14, 2, 0
	v_mov_b32_e32 v15, 0
	v_add_nc_u32_e32 v4, 52, v14
	v_add_nc_u32_e32 v6, 0x68, v14
	;; [unrolled: 1-line block ×3, first 2 shown]
	ds_read2_b32 v[8:9], v20 offset1:52
	v_add3_u32 v1, v1, v3, v2
	v_lshlrev_b64 v[2:3], 2, v[12:13]
	v_mov_b32_e32 v5, v15
	ds_read2_b32 v[12:13], v20 offset0:104 offset1:156
	v_lshlrev_b64 v[10:11], 2, v[14:15]
	v_lshlrev_b64 v[0:1], 2, v[0:1]
	v_mov_b32_e32 v7, v15
	v_lshlrev_b64 v[4:5], 2, v[4:5]
	v_mov_b32_e32 v19, v15
	v_add_nc_u32_e32 v21, 0xc00, v20
	v_add_co_u32 v0, vcc_lo, s10, v0
	v_add_co_ci_u32_e32 v1, vcc_lo, s11, v1, vcc_lo
	v_add_co_u32 v0, vcc_lo, v0, v2
	v_add_co_ci_u32_e32 v1, vcc_lo, v1, v3, vcc_lo
	v_lshlrev_b64 v[2:3], 2, v[6:7]
	v_add_co_u32 v6, vcc_lo, v0, v10
	v_add_co_ci_u32_e32 v7, vcc_lo, v1, v11, vcc_lo
	v_add_co_u32 v4, vcc_lo, v0, v4
	v_add_co_ci_u32_e32 v5, vcc_lo, v1, v5, vcc_lo
	;; [unrolled: 2-line block ×3, first 2 shown]
	v_add_nc_u32_e32 v10, 0x9c, v14
	v_mov_b32_e32 v11, v15
	s_waitcnt lgkmcnt(1)
	global_store_dword v[6:7], v8, off
	global_store_dword v[4:5], v9, off
	s_waitcnt lgkmcnt(0)
	global_store_dword v[2:3], v12, off
	v_add_nc_u32_e32 v8, 0x200, v20
	v_add_nc_u32_e32 v12, 0x400, v20
	;; [unrolled: 1-line block ×3, first 2 shown]
	v_mov_b32_e32 v5, v15
	v_lshlrev_b64 v[2:3], 2, v[10:11]
	ds_read2_b32 v[8:9], v8 offset0:80 offset1:132
	v_add_nc_u32_e32 v6, 0x104, v14
	v_mov_b32_e32 v7, v15
	ds_read2_b32 v[16:17], v12 offset0:56 offset1:108
	v_lshlrev_b64 v[4:5], 2, v[4:5]
	v_add_nc_u32_e32 v10, 0x138, v14
	v_add_co_u32 v2, vcc_lo, v0, v2
	v_lshlrev_b64 v[6:7], 2, v[6:7]
	v_add_co_ci_u32_e32 v3, vcc_lo, v1, v3, vcc_lo
	v_add_co_u32 v4, vcc_lo, v0, v4
	v_lshlrev_b64 v[10:11], 2, v[10:11]
	v_add_co_ci_u32_e32 v5, vcc_lo, v1, v5, vcc_lo
	v_add_co_u32 v6, vcc_lo, v0, v6
	v_add_co_ci_u32_e32 v7, vcc_lo, v1, v7, vcc_lo
	v_add_co_u32 v10, vcc_lo, v0, v10
	v_add_co_ci_u32_e32 v11, vcc_lo, v1, v11, vcc_lo
	global_store_dword v[2:3], v13, off
	s_waitcnt lgkmcnt(1)
	global_store_dword v[4:5], v8, off
	global_store_dword v[6:7], v9, off
	s_waitcnt lgkmcnt(0)
	global_store_dword v[10:11], v16, off
	v_add_nc_u32_e32 v16, 0x800, v20
	v_add_nc_u32_e32 v4, 0x1a0, v14
	v_mov_b32_e32 v5, v15
	v_lshlrev_b64 v[2:3], 2, v[18:19]
	ds_read2_b32 v[8:9], v12 offset0:160 offset1:212
	v_add_nc_u32_e32 v6, 0x1d4, v14
	v_mov_b32_e32 v7, v15
	ds_read2_b32 v[12:13], v16 offset0:8 offset1:60
	v_lshlrev_b64 v[4:5], 2, v[4:5]
	v_add_nc_u32_e32 v10, 0x208, v14
	v_mov_b32_e32 v11, v15
	v_add_co_u32 v2, vcc_lo, v0, v2
	v_lshlrev_b64 v[6:7], 2, v[6:7]
	v_add_co_ci_u32_e32 v3, vcc_lo, v1, v3, vcc_lo
	v_add_nc_u32_e32 v18, 0x23c, v14
	v_add_co_u32 v4, vcc_lo, v0, v4
	v_lshlrev_b64 v[10:11], 2, v[10:11]
	v_add_co_ci_u32_e32 v5, vcc_lo, v1, v5, vcc_lo
	v_add_co_u32 v6, vcc_lo, v0, v6
	v_lshlrev_b64 v[18:19], 2, v[18:19]
	v_add_co_ci_u32_e32 v7, vcc_lo, v1, v7, vcc_lo
	v_add_co_u32 v10, vcc_lo, v0, v10
	v_add_co_ci_u32_e32 v11, vcc_lo, v1, v11, vcc_lo
	global_store_dword v[2:3], v17, off
	s_waitcnt lgkmcnt(1)
	global_store_dword v[4:5], v8, off
	global_store_dword v[6:7], v9, off
	s_waitcnt lgkmcnt(0)
	global_store_dword v[10:11], v12, off
	v_add_co_u32 v2, vcc_lo, v0, v18
	v_add_co_ci_u32_e32 v3, vcc_lo, v1, v19, vcc_lo
	v_add_nc_u32_e32 v10, 0xa00, v20
	v_add_nc_u32_e32 v4, 0x270, v14
	v_mov_b32_e32 v5, v15
	global_store_dword v[2:3], v13, off
	ds_read2_b32 v[2:3], v16 offset0:112 offset1:164
	v_add_nc_u32_e32 v6, 0x2a4, v14
	v_mov_b32_e32 v7, v15
	ds_read2_b32 v[10:11], v10 offset0:88 offset1:140
	v_lshlrev_b64 v[4:5], 2, v[4:5]
	v_add_nc_u32_e32 v8, 0x2d8, v14
	v_mov_b32_e32 v9, v15
	v_lshlrev_b64 v[6:7], 2, v[6:7]
	v_add_nc_u32_e32 v12, 0x30c, v14
	v_mov_b32_e32 v13, v15
	v_add_co_u32 v4, vcc_lo, v0, v4
	v_lshlrev_b64 v[8:9], 2, v[8:9]
	v_add_co_ci_u32_e32 v5, vcc_lo, v1, v5, vcc_lo
	v_add_co_u32 v6, vcc_lo, v0, v6
	ds_read2_b32 v[18:19], v21 offset0:64 offset1:116
	v_add_co_ci_u32_e32 v7, vcc_lo, v1, v7, vcc_lo
	v_add_co_u32 v8, vcc_lo, v0, v8
	v_add_nc_u32_e32 v16, 0x340, v14
	v_mov_b32_e32 v17, v15
	v_add_co_ci_u32_e32 v9, vcc_lo, v1, v9, vcc_lo
	v_lshlrev_b64 v[12:13], 2, v[12:13]
	s_waitcnt lgkmcnt(2)
	global_store_dword v[4:5], v2, off
	global_store_dword v[6:7], v3, off
	s_waitcnt lgkmcnt(1)
	global_store_dword v[8:9], v10, off
	v_lshlrev_b64 v[2:3], 2, v[16:17]
	v_add_nc_u32_e32 v6, 0x374, v14
	v_mov_b32_e32 v7, v15
	v_add_nc_u32_e32 v8, 0x3a8, v14
	v_add_co_u32 v4, vcc_lo, v0, v12
	v_add_co_ci_u32_e32 v5, vcc_lo, v1, v13, vcc_lo
	v_add_co_u32 v2, vcc_lo, v0, v2
	v_add_co_ci_u32_e32 v3, vcc_lo, v1, v3, vcc_lo
	v_mov_b32_e32 v9, v15
	global_store_dword v[4:5], v11, off
	s_waitcnt lgkmcnt(0)
	global_store_dword v[2:3], v18, off
	ds_read2_b32 v[4:5], v21 offset0:168 offset1:220
	v_lshlrev_b64 v[2:3], 2, v[6:7]
	v_lshlrev_b64 v[6:7], 2, v[8:9]
	v_add_nc_u32_e32 v8, 0x3dc, v14
	v_add_nc_u32_e32 v10, 0x410, v14
	v_mov_b32_e32 v11, v15
	v_add_nc_u32_e32 v12, 0x1000, v20
	v_add_co_u32 v2, vcc_lo, v0, v2
	v_lshlrev_b64 v[8:9], 2, v[8:9]
	v_add_co_ci_u32_e32 v3, vcc_lo, v1, v3, vcc_lo
	v_add_co_u32 v6, vcc_lo, v0, v6
	v_add_co_ci_u32_e32 v7, vcc_lo, v1, v7, vcc_lo
	v_add_co_u32 v8, vcc_lo, v0, v8
	v_add_co_ci_u32_e32 v9, vcc_lo, v1, v9, vcc_lo
	global_store_dword v[2:3], v19, off
	s_waitcnt lgkmcnt(0)
	global_store_dword v[6:7], v4, off
	global_store_dword v[8:9], v5, off
	v_add_nc_u32_e32 v6, 0x444, v14
	v_mov_b32_e32 v7, v15
	v_lshlrev_b64 v[4:5], 2, v[10:11]
	v_add_nc_u32_e32 v8, 0x478, v14
	v_mov_b32_e32 v9, v15
	ds_read2_b32 v[2:3], v12 offset0:16 offset1:68
	v_lshlrev_b64 v[6:7], 2, v[6:7]
	ds_read2_b32 v[10:11], v12 offset0:120 offset1:172
	v_add_nc_u32_e32 v12, 0x4ac, v14
	v_mov_b32_e32 v13, v15
	v_add_co_u32 v4, vcc_lo, v0, v4
	v_lshlrev_b64 v[8:9], 2, v[8:9]
	v_add_co_ci_u32_e32 v5, vcc_lo, v1, v5, vcc_lo
	v_add_co_u32 v6, vcc_lo, v0, v6
	v_lshlrev_b64 v[12:13], 2, v[12:13]
	v_add_co_ci_u32_e32 v7, vcc_lo, v1, v7, vcc_lo
	v_add_co_u32 v8, vcc_lo, v0, v8
	v_add_co_ci_u32_e32 v9, vcc_lo, v1, v9, vcc_lo
	v_add_co_u32 v12, vcc_lo, v0, v12
	v_add_co_ci_u32_e32 v13, vcc_lo, v1, v13, vcc_lo
	v_cmp_eq_u32_e32 vcc_lo, 51, v14
	s_waitcnt lgkmcnt(1)
	global_store_dword v[4:5], v2, off
	global_store_dword v[6:7], v3, off
	s_waitcnt lgkmcnt(0)
	global_store_dword v[8:9], v10, off
	global_store_dword v[12:13], v11, off
	s_and_b32 exec_lo, exec_lo, vcc_lo
	s_cbranch_execz .LBB0_24
; %bb.23:
	ds_read_b32 v2, v15 offset:4992
	v_add_co_u32 v0, vcc_lo, 0x1000, v0
	v_add_co_ci_u32_e32 v1, vcc_lo, 0, v1, vcc_lo
	s_waitcnt lgkmcnt(0)
	global_store_dword v[0:1], v2, off offset:896
.LBB0_24:
	s_endpgm
	.section	.rodata,"a",@progbits
	.p2align	6, 0x0
	.amdhsa_kernel fft_rtc_back_len1248_factors_2_2_13_2_3_2_2_wgs_52_tpt_52_halfLds_half_op_CI_CI_unitstride_sbrr_R2C_dirReg
		.amdhsa_group_segment_fixed_size 0
		.amdhsa_private_segment_fixed_size 0
		.amdhsa_kernarg_size 104
		.amdhsa_user_sgpr_count 6
		.amdhsa_user_sgpr_private_segment_buffer 1
		.amdhsa_user_sgpr_dispatch_ptr 0
		.amdhsa_user_sgpr_queue_ptr 0
		.amdhsa_user_sgpr_kernarg_segment_ptr 1
		.amdhsa_user_sgpr_dispatch_id 0
		.amdhsa_user_sgpr_flat_scratch_init 0
		.amdhsa_user_sgpr_private_segment_size 0
		.amdhsa_wavefront_size32 1
		.amdhsa_uses_dynamic_stack 0
		.amdhsa_system_sgpr_private_segment_wavefront_offset 0
		.amdhsa_system_sgpr_workgroup_id_x 1
		.amdhsa_system_sgpr_workgroup_id_y 0
		.amdhsa_system_sgpr_workgroup_id_z 0
		.amdhsa_system_sgpr_workgroup_info 0
		.amdhsa_system_vgpr_workitem_id 0
		.amdhsa_next_free_vgpr 220
		.amdhsa_next_free_sgpr 27
		.amdhsa_reserve_vcc 1
		.amdhsa_reserve_flat_scratch 0
		.amdhsa_float_round_mode_32 0
		.amdhsa_float_round_mode_16_64 0
		.amdhsa_float_denorm_mode_32 3
		.amdhsa_float_denorm_mode_16_64 3
		.amdhsa_dx10_clamp 1
		.amdhsa_ieee_mode 1
		.amdhsa_fp16_overflow 0
		.amdhsa_workgroup_processor_mode 1
		.amdhsa_memory_ordered 1
		.amdhsa_forward_progress 0
		.amdhsa_shared_vgpr_count 0
		.amdhsa_exception_fp_ieee_invalid_op 0
		.amdhsa_exception_fp_denorm_src 0
		.amdhsa_exception_fp_ieee_div_zero 0
		.amdhsa_exception_fp_ieee_overflow 0
		.amdhsa_exception_fp_ieee_underflow 0
		.amdhsa_exception_fp_ieee_inexact 0
		.amdhsa_exception_int_div_zero 0
	.end_amdhsa_kernel
	.text
.Lfunc_end0:
	.size	fft_rtc_back_len1248_factors_2_2_13_2_3_2_2_wgs_52_tpt_52_halfLds_half_op_CI_CI_unitstride_sbrr_R2C_dirReg, .Lfunc_end0-fft_rtc_back_len1248_factors_2_2_13_2_3_2_2_wgs_52_tpt_52_halfLds_half_op_CI_CI_unitstride_sbrr_R2C_dirReg
                                        ; -- End function
	.section	.AMDGPU.csdata,"",@progbits
; Kernel info:
; codeLenInByte = 21496
; NumSgprs: 29
; NumVgprs: 220
; ScratchSize: 0
; MemoryBound: 0
; FloatMode: 240
; IeeeMode: 1
; LDSByteSize: 0 bytes/workgroup (compile time only)
; SGPRBlocks: 3
; VGPRBlocks: 27
; NumSGPRsForWavesPerEU: 29
; NumVGPRsForWavesPerEU: 220
; Occupancy: 4
; WaveLimiterHint : 1
; COMPUTE_PGM_RSRC2:SCRATCH_EN: 0
; COMPUTE_PGM_RSRC2:USER_SGPR: 6
; COMPUTE_PGM_RSRC2:TRAP_HANDLER: 0
; COMPUTE_PGM_RSRC2:TGID_X_EN: 1
; COMPUTE_PGM_RSRC2:TGID_Y_EN: 0
; COMPUTE_PGM_RSRC2:TGID_Z_EN: 0
; COMPUTE_PGM_RSRC2:TIDIG_COMP_CNT: 0
	.text
	.p2alignl 6, 3214868480
	.fill 48, 4, 3214868480
	.type	__hip_cuid_4aff30894198d5fc,@object ; @__hip_cuid_4aff30894198d5fc
	.section	.bss,"aw",@nobits
	.globl	__hip_cuid_4aff30894198d5fc
__hip_cuid_4aff30894198d5fc:
	.byte	0                               ; 0x0
	.size	__hip_cuid_4aff30894198d5fc, 1

	.ident	"AMD clang version 19.0.0git (https://github.com/RadeonOpenCompute/llvm-project roc-6.4.0 25133 c7fe45cf4b819c5991fe208aaa96edf142730f1d)"
	.section	".note.GNU-stack","",@progbits
	.addrsig
	.addrsig_sym __hip_cuid_4aff30894198d5fc
	.amdgpu_metadata
---
amdhsa.kernels:
  - .args:
      - .actual_access:  read_only
        .address_space:  global
        .offset:         0
        .size:           8
        .value_kind:     global_buffer
      - .offset:         8
        .size:           8
        .value_kind:     by_value
      - .actual_access:  read_only
        .address_space:  global
        .offset:         16
        .size:           8
        .value_kind:     global_buffer
      - .actual_access:  read_only
        .address_space:  global
        .offset:         24
        .size:           8
        .value_kind:     global_buffer
      - .actual_access:  read_only
        .address_space:  global
        .offset:         32
        .size:           8
        .value_kind:     global_buffer
      - .offset:         40
        .size:           8
        .value_kind:     by_value
      - .actual_access:  read_only
        .address_space:  global
        .offset:         48
        .size:           8
        .value_kind:     global_buffer
      - .actual_access:  read_only
        .address_space:  global
        .offset:         56
        .size:           8
        .value_kind:     global_buffer
      - .offset:         64
        .size:           4
        .value_kind:     by_value
      - .actual_access:  read_only
        .address_space:  global
        .offset:         72
        .size:           8
        .value_kind:     global_buffer
      - .actual_access:  read_only
        .address_space:  global
        .offset:         80
        .size:           8
        .value_kind:     global_buffer
      - .actual_access:  read_only
        .address_space:  global
        .offset:         88
        .size:           8
        .value_kind:     global_buffer
      - .actual_access:  write_only
        .address_space:  global
        .offset:         96
        .size:           8
        .value_kind:     global_buffer
    .group_segment_fixed_size: 0
    .kernarg_segment_align: 8
    .kernarg_segment_size: 104
    .language:       OpenCL C
    .language_version:
      - 2
      - 0
    .max_flat_workgroup_size: 52
    .name:           fft_rtc_back_len1248_factors_2_2_13_2_3_2_2_wgs_52_tpt_52_halfLds_half_op_CI_CI_unitstride_sbrr_R2C_dirReg
    .private_segment_fixed_size: 0
    .sgpr_count:     29
    .sgpr_spill_count: 0
    .symbol:         fft_rtc_back_len1248_factors_2_2_13_2_3_2_2_wgs_52_tpt_52_halfLds_half_op_CI_CI_unitstride_sbrr_R2C_dirReg.kd
    .uniform_work_group_size: 1
    .uses_dynamic_stack: false
    .vgpr_count:     220
    .vgpr_spill_count: 0
    .wavefront_size: 32
    .workgroup_processor_mode: 1
amdhsa.target:   amdgcn-amd-amdhsa--gfx1030
amdhsa.version:
  - 1
  - 2
...

	.end_amdgpu_metadata
